;; amdgpu-corpus repo=ROCm/rocFFT kind=compiled arch=gfx1201 opt=O3
	.text
	.amdgcn_target "amdgcn-amd-amdhsa--gfx1201"
	.amdhsa_code_object_version 6
	.protected	fft_rtc_back_len595_factors_7_17_5_wgs_51_tpt_17_halfLds_dp_ip_CI_sbrr_dirReg ; -- Begin function fft_rtc_back_len595_factors_7_17_5_wgs_51_tpt_17_halfLds_dp_ip_CI_sbrr_dirReg
	.globl	fft_rtc_back_len595_factors_7_17_5_wgs_51_tpt_17_halfLds_dp_ip_CI_sbrr_dirReg
	.p2align	8
	.type	fft_rtc_back_len595_factors_7_17_5_wgs_51_tpt_17_halfLds_dp_ip_CI_sbrr_dirReg,@function
fft_rtc_back_len595_factors_7_17_5_wgs_51_tpt_17_halfLds_dp_ip_CI_sbrr_dirReg: ; @fft_rtc_back_len595_factors_7_17_5_wgs_51_tpt_17_halfLds_dp_ip_CI_sbrr_dirReg
; %bb.0:
	s_clause 0x1
	s_load_b64 s[12:13], s[0:1], 0x18
	s_load_b128 s[4:7], s[0:1], 0x0
	v_mul_u32_u24_e32 v1, 0xf10, v0
	v_mov_b32_e32 v6, 0
	s_load_b64 s[10:11], s[0:1], 0x50
	s_wait_kmcnt 0x0
	s_load_b64 s[8:9], s[12:13], 0x0
	v_lshrrev_b32_e32 v1, 16, v1
	v_cmp_lt_u64_e64 s2, s[6:7], 2
	s_delay_alu instid0(VALU_DEP_2) | instskip(SKIP_2) | instid1(VALU_DEP_4)
	v_mad_co_u64_u32 v[4:5], null, ttmp9, 3, v[1:2]
	v_mov_b32_e32 v1, 0
	v_dual_mov_b32 v5, v6 :: v_dual_mov_b32 v2, 0
	s_and_b32 vcc_lo, exec_lo, s2
	s_delay_alu instid0(VALU_DEP_1)
	v_dual_mov_b32 v11, v5 :: v_dual_mov_b32 v10, v4
	s_cbranch_vccnz .LBB0_8
; %bb.1:
	s_load_b64 s[2:3], s[0:1], 0x10
	v_mov_b32_e32 v1, 0
	v_dual_mov_b32 v2, 0 :: v_dual_mov_b32 v9, v5
	v_mov_b32_e32 v8, v4
	s_add_nc_u64 s[14:15], s[12:13], 8
	s_mov_b64 s[16:17], 1
	s_wait_kmcnt 0x0
	s_add_nc_u64 s[18:19], s[2:3], 8
	s_mov_b32 s3, 0
.LBB0_2:                                ; =>This Inner Loop Header: Depth=1
	s_load_b64 s[20:21], s[18:19], 0x0
                                        ; implicit-def: $vgpr10_vgpr11
	s_mov_b32 s2, exec_lo
	s_wait_kmcnt 0x0
	v_or_b32_e32 v7, s21, v9
	s_delay_alu instid0(VALU_DEP_1)
	v_cmpx_ne_u64_e32 0, v[6:7]
	s_wait_alu 0xfffe
	s_xor_b32 s22, exec_lo, s2
	s_cbranch_execz .LBB0_4
; %bb.3:                                ;   in Loop: Header=BB0_2 Depth=1
	s_cvt_f32_u32 s2, s20
	s_cvt_f32_u32 s23, s21
	s_sub_nc_u64 s[26:27], 0, s[20:21]
	s_wait_alu 0xfffe
	s_delay_alu instid0(SALU_CYCLE_1) | instskip(SKIP_1) | instid1(SALU_CYCLE_2)
	s_fmamk_f32 s2, s23, 0x4f800000, s2
	s_wait_alu 0xfffe
	v_s_rcp_f32 s2, s2
	s_delay_alu instid0(TRANS32_DEP_1) | instskip(SKIP_1) | instid1(SALU_CYCLE_2)
	s_mul_f32 s2, s2, 0x5f7ffffc
	s_wait_alu 0xfffe
	s_mul_f32 s23, s2, 0x2f800000
	s_wait_alu 0xfffe
	s_delay_alu instid0(SALU_CYCLE_2) | instskip(SKIP_1) | instid1(SALU_CYCLE_2)
	s_trunc_f32 s23, s23
	s_wait_alu 0xfffe
	s_fmamk_f32 s2, s23, 0xcf800000, s2
	s_cvt_u32_f32 s25, s23
	s_wait_alu 0xfffe
	s_delay_alu instid0(SALU_CYCLE_1) | instskip(SKIP_1) | instid1(SALU_CYCLE_2)
	s_cvt_u32_f32 s24, s2
	s_wait_alu 0xfffe
	s_mul_u64 s[28:29], s[26:27], s[24:25]
	s_wait_alu 0xfffe
	s_mul_hi_u32 s31, s24, s29
	s_mul_i32 s30, s24, s29
	s_mul_hi_u32 s2, s24, s28
	s_mul_i32 s33, s25, s28
	s_wait_alu 0xfffe
	s_add_nc_u64 s[30:31], s[2:3], s[30:31]
	s_mul_hi_u32 s23, s25, s28
	s_mul_hi_u32 s34, s25, s29
	s_add_co_u32 s2, s30, s33
	s_wait_alu 0xfffe
	s_add_co_ci_u32 s2, s31, s23
	s_mul_i32 s28, s25, s29
	s_add_co_ci_u32 s29, s34, 0
	s_wait_alu 0xfffe
	s_add_nc_u64 s[28:29], s[2:3], s[28:29]
	s_wait_alu 0xfffe
	v_add_co_u32 v3, s2, s24, s28
	s_delay_alu instid0(VALU_DEP_1) | instskip(SKIP_1) | instid1(VALU_DEP_1)
	s_cmp_lg_u32 s2, 0
	s_add_co_ci_u32 s25, s25, s29
	v_readfirstlane_b32 s24, v3
	s_wait_alu 0xfffe
	s_delay_alu instid0(VALU_DEP_1)
	s_mul_u64 s[26:27], s[26:27], s[24:25]
	s_wait_alu 0xfffe
	s_mul_hi_u32 s29, s24, s27
	s_mul_i32 s28, s24, s27
	s_mul_hi_u32 s2, s24, s26
	s_mul_i32 s30, s25, s26
	s_wait_alu 0xfffe
	s_add_nc_u64 s[28:29], s[2:3], s[28:29]
	s_mul_hi_u32 s23, s25, s26
	s_mul_hi_u32 s24, s25, s27
	s_wait_alu 0xfffe
	s_add_co_u32 s2, s28, s30
	s_add_co_ci_u32 s2, s29, s23
	s_mul_i32 s26, s25, s27
	s_add_co_ci_u32 s27, s24, 0
	s_wait_alu 0xfffe
	s_add_nc_u64 s[26:27], s[2:3], s[26:27]
	s_wait_alu 0xfffe
	v_add_co_u32 v3, s2, v3, s26
	s_delay_alu instid0(VALU_DEP_1) | instskip(SKIP_1) | instid1(VALU_DEP_1)
	s_cmp_lg_u32 s2, 0
	s_add_co_ci_u32 s2, s25, s27
	v_mul_hi_u32 v5, v8, v3
	s_wait_alu 0xfffe
	v_mad_co_u64_u32 v[10:11], null, v8, s2, 0
	v_mad_co_u64_u32 v[12:13], null, v9, v3, 0
	;; [unrolled: 1-line block ×3, first 2 shown]
	s_delay_alu instid0(VALU_DEP_3) | instskip(SKIP_1) | instid1(VALU_DEP_4)
	v_add_co_u32 v3, vcc_lo, v5, v10
	s_wait_alu 0xfffd
	v_add_co_ci_u32_e32 v5, vcc_lo, 0, v11, vcc_lo
	s_delay_alu instid0(VALU_DEP_2) | instskip(SKIP_1) | instid1(VALU_DEP_2)
	v_add_co_u32 v3, vcc_lo, v3, v12
	s_wait_alu 0xfffd
	v_add_co_ci_u32_e32 v3, vcc_lo, v5, v13, vcc_lo
	s_wait_alu 0xfffd
	v_add_co_ci_u32_e32 v5, vcc_lo, 0, v15, vcc_lo
	s_delay_alu instid0(VALU_DEP_2) | instskip(SKIP_1) | instid1(VALU_DEP_2)
	v_add_co_u32 v3, vcc_lo, v3, v14
	s_wait_alu 0xfffd
	v_add_co_ci_u32_e32 v5, vcc_lo, 0, v5, vcc_lo
	s_delay_alu instid0(VALU_DEP_2) | instskip(SKIP_1) | instid1(VALU_DEP_3)
	v_mul_lo_u32 v7, s21, v3
	v_mad_co_u64_u32 v[10:11], null, s20, v3, 0
	v_mul_lo_u32 v12, s20, v5
	s_delay_alu instid0(VALU_DEP_2) | instskip(NEXT) | instid1(VALU_DEP_2)
	v_sub_co_u32 v10, vcc_lo, v8, v10
	v_add3_u32 v7, v11, v12, v7
	s_delay_alu instid0(VALU_DEP_1) | instskip(SKIP_1) | instid1(VALU_DEP_1)
	v_sub_nc_u32_e32 v11, v9, v7
	s_wait_alu 0xfffd
	v_subrev_co_ci_u32_e64 v11, s2, s21, v11, vcc_lo
	v_add_co_u32 v12, s2, v3, 2
	s_wait_alu 0xf1ff
	v_add_co_ci_u32_e64 v13, s2, 0, v5, s2
	v_sub_co_u32 v14, s2, v10, s20
	v_sub_co_ci_u32_e32 v7, vcc_lo, v9, v7, vcc_lo
	s_wait_alu 0xf1ff
	v_subrev_co_ci_u32_e64 v11, s2, 0, v11, s2
	s_delay_alu instid0(VALU_DEP_3) | instskip(NEXT) | instid1(VALU_DEP_3)
	v_cmp_le_u32_e32 vcc_lo, s20, v14
	v_cmp_eq_u32_e64 s2, s21, v7
	s_wait_alu 0xfffd
	v_cndmask_b32_e64 v14, 0, -1, vcc_lo
	v_cmp_le_u32_e32 vcc_lo, s21, v11
	s_wait_alu 0xfffd
	v_cndmask_b32_e64 v15, 0, -1, vcc_lo
	v_cmp_le_u32_e32 vcc_lo, s20, v10
	;; [unrolled: 3-line block ×3, first 2 shown]
	s_wait_alu 0xfffd
	v_cndmask_b32_e64 v16, 0, -1, vcc_lo
	v_cmp_eq_u32_e32 vcc_lo, s21, v11
	s_wait_alu 0xf1ff
	s_delay_alu instid0(VALU_DEP_2)
	v_cndmask_b32_e64 v7, v16, v10, s2
	s_wait_alu 0xfffd
	v_cndmask_b32_e32 v11, v15, v14, vcc_lo
	v_add_co_u32 v14, vcc_lo, v3, 1
	s_wait_alu 0xfffd
	v_add_co_ci_u32_e32 v15, vcc_lo, 0, v5, vcc_lo
	s_delay_alu instid0(VALU_DEP_3) | instskip(SKIP_2) | instid1(VALU_DEP_3)
	v_cmp_ne_u32_e32 vcc_lo, 0, v11
	s_wait_alu 0xfffd
	v_cndmask_b32_e32 v12, v14, v12, vcc_lo
	v_cndmask_b32_e32 v10, v15, v13, vcc_lo
	v_cmp_ne_u32_e32 vcc_lo, 0, v7
	s_wait_alu 0xfffd
	s_delay_alu instid0(VALU_DEP_2)
	v_dual_cndmask_b32 v11, v5, v10 :: v_dual_cndmask_b32 v10, v3, v12
.LBB0_4:                                ;   in Loop: Header=BB0_2 Depth=1
	s_wait_alu 0xfffe
	s_and_not1_saveexec_b32 s2, s22
	s_cbranch_execz .LBB0_6
; %bb.5:                                ;   in Loop: Header=BB0_2 Depth=1
	v_cvt_f32_u32_e32 v3, s20
	s_sub_co_i32 s22, 0, s20
	v_mov_b32_e32 v11, v6
	s_delay_alu instid0(VALU_DEP_2) | instskip(NEXT) | instid1(TRANS32_DEP_1)
	v_rcp_iflag_f32_e32 v3, v3
	v_mul_f32_e32 v3, 0x4f7ffffe, v3
	s_delay_alu instid0(VALU_DEP_1) | instskip(SKIP_1) | instid1(VALU_DEP_1)
	v_cvt_u32_f32_e32 v3, v3
	s_wait_alu 0xfffe
	v_mul_lo_u32 v5, s22, v3
	s_delay_alu instid0(VALU_DEP_1) | instskip(NEXT) | instid1(VALU_DEP_1)
	v_mul_hi_u32 v5, v3, v5
	v_add_nc_u32_e32 v3, v3, v5
	s_delay_alu instid0(VALU_DEP_1) | instskip(NEXT) | instid1(VALU_DEP_1)
	v_mul_hi_u32 v3, v8, v3
	v_mul_lo_u32 v5, v3, s20
	v_add_nc_u32_e32 v7, 1, v3
	s_delay_alu instid0(VALU_DEP_2) | instskip(NEXT) | instid1(VALU_DEP_1)
	v_sub_nc_u32_e32 v5, v8, v5
	v_cmp_le_u32_e32 vcc_lo, s20, v5
	v_subrev_nc_u32_e32 v10, s20, v5
	s_wait_alu 0xfffd
	v_cndmask_b32_e32 v3, v3, v7, vcc_lo
	s_delay_alu instid0(VALU_DEP_1) | instskip(NEXT) | instid1(VALU_DEP_3)
	v_add_nc_u32_e32 v7, 1, v3
	v_cndmask_b32_e32 v5, v5, v10, vcc_lo
	s_delay_alu instid0(VALU_DEP_1) | instskip(SKIP_1) | instid1(VALU_DEP_3)
	v_cmp_le_u32_e32 vcc_lo, s20, v5
	s_wait_alu 0xfffd
	v_cndmask_b32_e32 v10, v3, v7, vcc_lo
.LBB0_6:                                ;   in Loop: Header=BB0_2 Depth=1
	s_wait_alu 0xfffe
	s_or_b32 exec_lo, exec_lo, s2
	s_load_b64 s[22:23], s[14:15], 0x0
	v_mul_lo_u32 v3, v11, s20
	v_mul_lo_u32 v5, v10, s21
	v_mad_co_u64_u32 v[12:13], null, v10, s20, 0
	s_add_nc_u64 s[16:17], s[16:17], 1
	s_add_nc_u64 s[14:15], s[14:15], 8
	s_wait_alu 0xfffe
	v_cmp_ge_u64_e64 s2, s[16:17], s[6:7]
	s_add_nc_u64 s[18:19], s[18:19], 8
	s_delay_alu instid0(VALU_DEP_2) | instskip(NEXT) | instid1(VALU_DEP_3)
	v_add3_u32 v3, v13, v5, v3
	v_sub_co_u32 v5, vcc_lo, v8, v12
	s_wait_alu 0xfffd
	s_delay_alu instid0(VALU_DEP_2) | instskip(SKIP_3) | instid1(VALU_DEP_2)
	v_sub_co_ci_u32_e32 v3, vcc_lo, v9, v3, vcc_lo
	s_and_b32 vcc_lo, exec_lo, s2
	s_wait_kmcnt 0x0
	v_mul_lo_u32 v7, s23, v5
	v_mul_lo_u32 v3, s22, v3
	v_mad_co_u64_u32 v[1:2], null, s22, v5, v[1:2]
	s_delay_alu instid0(VALU_DEP_1)
	v_add3_u32 v2, v7, v2, v3
	s_wait_alu 0xfffe
	s_cbranch_vccnz .LBB0_8
; %bb.7:                                ;   in Loop: Header=BB0_2 Depth=1
	v_dual_mov_b32 v8, v10 :: v_dual_mov_b32 v9, v11
	s_branch .LBB0_2
.LBB0_8:
	s_lshl_b64 s[2:3], s[6:7], 3
	v_mul_hi_u32 v3, 0xf0f0f10, v0
	s_wait_alu 0xfffe
	s_add_nc_u64 s[2:3], s[12:13], s[2:3]
	s_load_b64 s[0:1], s[0:1], 0x20
	s_load_b64 s[2:3], s[2:3], 0x0
                                        ; implicit-def: $vgpr233
                                        ; implicit-def: $vgpr236
	s_delay_alu instid0(VALU_DEP_1) | instskip(NEXT) | instid1(VALU_DEP_1)
	v_mul_u32_u24_e32 v3, 17, v3
	v_sub_nc_u32_e32 v232, v0, v3
	s_wait_kmcnt 0x0
	v_cmp_gt_u64_e32 vcc_lo, s[0:1], v[10:11]
	v_mad_co_u64_u32 v[0:1], null, s2, v10, v[1:2]
	s_delay_alu instid0(VALU_DEP_3)
	v_add_nc_u32_e32 v2, 34, v232
	v_mul_lo_u32 v3, s2, v11
	v_mul_lo_u32 v5, s3, v10
	v_cmp_le_u64_e64 s0, s[0:1], v[10:11]
	scratch_store_b32 off, v2, off offset:632 ; 4-byte Folded Spill
	v_add_nc_u32_e32 v2, 51, v232
	v_add3_u32 v1, v5, v1, v3
	scratch_store_b32 off, v2, off offset:628 ; 4-byte Folded Spill
	v_add_nc_u32_e32 v2, 0x44, v232
	scratch_store_b32 off, v2, off offset:624 ; 4-byte Folded Spill
                                        ; implicit-def: $vgpr2
                                        ; kill: killed $vgpr2
                                        ; implicit-def: $vgpr2
                                        ; kill: killed $vgpr2
	s_and_saveexec_b32 s1, s0
	s_wait_alu 0xfffe
	s_xor_b32 s0, exec_lo, s1
	s_cbranch_execz .LBB0_10
; %bb.9:
	v_add_nc_u32_e32 v2, 51, v232
	v_add_nc_u32_e32 v233, 17, v232
	;; [unrolled: 1-line block ×3, first 2 shown]
	scratch_store_b32 off, v2, off          ; 4-byte Folded Spill
	v_add_nc_u32_e32 v2, 0x44, v232
	scratch_store_b32 off, v2, off offset:16 ; 4-byte Folded Spill
.LBB0_10:
	s_wait_alu 0xfffe
	s_or_saveexec_b32 s1, s0
	v_lshlrev_b64_e32 v[0:1], 4, v[0:1]
                                        ; implicit-def: $vgpr116_vgpr117
                                        ; implicit-def: $vgpr136_vgpr137
                                        ; implicit-def: $vgpr124_vgpr125
                                        ; implicit-def: $vgpr120_vgpr121
                                        ; implicit-def: $vgpr132_vgpr133
                                        ; implicit-def: $vgpr112_vgpr113
                                        ; implicit-def: $vgpr2_vgpr3
                                        ; implicit-def: $vgpr144_vgpr145
                                        ; implicit-def: $vgpr160_vgpr161
                                        ; implicit-def: $vgpr152_vgpr153
                                        ; implicit-def: $vgpr148_vgpr149
                                        ; implicit-def: $vgpr156_vgpr157
                                        ; implicit-def: $vgpr140_vgpr141
                                        ; implicit-def: $vgpr52_vgpr53
                                        ; implicit-def: $vgpr168_vgpr169
                                        ; implicit-def: $vgpr184_vgpr185
                                        ; implicit-def: $vgpr176_vgpr177
                                        ; implicit-def: $vgpr172_vgpr173
                                        ; implicit-def: $vgpr180_vgpr181
                                        ; implicit-def: $vgpr164_vgpr165
                                        ; implicit-def: $vgpr58_vgpr59
                                        ; implicit-def: $vgpr192_vgpr193
                                        ; implicit-def: $vgpr208_vgpr209
                                        ; implicit-def: $vgpr200_vgpr201
                                        ; implicit-def: $vgpr196_vgpr197
                                        ; implicit-def: $vgpr204_vgpr205
                                        ; implicit-def: $vgpr188_vgpr189
                                        ; implicit-def: $vgpr72_vgpr73
                                        ; implicit-def: $vgpr212_vgpr213
                                        ; implicit-def: $vgpr228_vgpr229
                                        ; implicit-def: $vgpr220_vgpr221
                                        ; implicit-def: $vgpr216_vgpr217
                                        ; implicit-def: $vgpr224_vgpr225
                                        ; implicit-def: $vgpr128_vgpr129
                                        ; implicit-def: $vgpr76_vgpr77
	scratch_store_b64 off, v[0:1], off offset:52 ; 8-byte Folded Spill
	s_wait_alu 0xfffe
	s_xor_b32 exec_lo, exec_lo, s1
	s_cbranch_execz .LBB0_12
; %bb.11:
	v_add_nc_u32_e32 v9, 0x55, v232
	v_add_nc_u32_e32 v11, 0xaa, v232
	v_mad_co_u64_u32 v[0:1], null, s8, v232, 0
	v_add_nc_u32_e32 v13, 0xff, v232
	s_delay_alu instid0(VALU_DEP_4) | instskip(NEXT) | instid1(VALU_DEP_4)
	v_mad_co_u64_u32 v[2:3], null, s8, v9, 0
	v_mad_co_u64_u32 v[5:6], null, s8, v11, 0
	v_add_nc_u32_e32 v15, 0x154, v232
	v_add_nc_u32_e32 v17, 0x1a9, v232
	;; [unrolled: 1-line block ×4, first 2 shown]
	v_mad_co_u64_u32 v[7:8], null, s9, v232, v[1:2]
	v_mov_b32_e32 v1, v6
	v_add_nc_u32_e32 v37, 0x20f, v232
	v_add_nc_u32_e32 v39, 0x77, v232
	;; [unrolled: 1-line block ×4, first 2 shown]
	v_mad_co_u64_u32 v[11:12], null, s9, v11, v[1:2]
	v_dual_mov_b32 v1, v7 :: v_dual_add_nc_u32 v20, 0x1fe, v232
	scratch_load_b64 v[6:7], off, off offset:52 ; 8-byte Folded Reload
	v_mad_co_u64_u32 v[54:55], null, s8, v58, 0
	v_lshlrev_b64_e32 v[0:1], 4, v[0:1]
	v_add_nc_u32_e32 v43, 0x121, v232
	v_add_nc_u32_e32 v45, 0x176, v232
	;; [unrolled: 1-line block ×3, first 2 shown]
	v_or_b32_e32 v50, 0x220, v232
	v_add_nc_u32_e32 v91, 51, v232
	v_add_nc_u32_e32 v63, 0x1dc, v232
	;; [unrolled: 1-line block ×9, first 2 shown]
	v_mad_co_u64_u32 v[69:70], null, s8, v73, 0
	v_mad_co_u64_u32 v[22:23], null, s8, v26, 0
	;; [unrolled: 1-line block ×3, first 2 shown]
	s_delay_alu instid0(VALU_DEP_4) | instskip(SKIP_4) | instid1(VALU_DEP_4)
	v_mad_co_u64_u32 v[35:36], null, s8, v236, 0
	v_add_nc_u32_e32 v56, 0xdd, v232
	v_add_nc_u32_e32 v60, 0x187, v232
	;; [unrolled: 1-line block ×4, first 2 shown]
	v_mad_co_u64_u32 v[52:53], null, s8, v56, 0
	s_wait_loadcnt 0x0
	v_add_co_u32 v31, s0, s10, v6
	v_mov_b32_e32 v6, v11
	v_mad_co_u64_u32 v[8:9], null, s9, v9, v[3:4]
	v_mad_co_u64_u32 v[9:10], null, s8, v13, 0
	s_wait_alu 0xf1ff
	v_add_co_ci_u32_e64 v32, s0, s11, v7, s0
	v_mad_co_u64_u32 v[11:12], null, s8, v15, 0
	s_delay_alu instid0(VALU_DEP_4)
	v_mov_b32_e32 v3, v8
	v_add_co_u32 v0, s0, v31, v0
	v_mov_b32_e32 v7, v10
	v_lshlrev_b64_e32 v[5:6], 4, v[5:6]
	s_wait_alu 0xf1ff
	v_add_co_ci_u32_e64 v1, s0, v32, v1, s0
	s_delay_alu instid0(VALU_DEP_3) | instskip(SKIP_2) | instid1(VALU_DEP_3)
	v_mad_co_u64_u32 v[7:8], null, s9, v13, v[7:8]
	v_mov_b32_e32 v8, v12
	v_mad_co_u64_u32 v[13:14], null, s8, v17, 0
	v_mov_b32_e32 v10, v7
	s_delay_alu instid0(VALU_DEP_3) | instskip(SKIP_1) | instid1(VALU_DEP_3)
	v_mad_co_u64_u32 v[7:8], null, s9, v15, v[8:9]
	v_mad_co_u64_u32 v[15:16], null, s8, v20, 0
	v_lshlrev_b64_e32 v[8:9], 4, v[9:10]
	v_mov_b32_e32 v10, v14
	s_delay_alu instid0(VALU_DEP_4) | instskip(SKIP_1) | instid1(VALU_DEP_3)
	v_mov_b32_e32 v12, v7
	v_lshlrev_b64_e32 v[2:3], 4, v[2:3]
	v_mad_co_u64_u32 v[17:18], null, s9, v17, v[10:11]
	v_mad_co_u64_u32 v[18:19], null, s8, v233, 0
	s_delay_alu instid0(VALU_DEP_4) | instskip(NEXT) | instid1(VALU_DEP_4)
	v_lshlrev_b64_e32 v[10:11], 4, v[11:12]
	v_add_co_u32 v2, s0, v31, v2
	s_wait_alu 0xf1ff
	v_add_co_ci_u32_e64 v3, s0, v32, v3, s0
	v_add_co_u32 v5, s0, v31, v5
	s_wait_alu 0xf1ff
	v_add_co_ci_u32_e64 v6, s0, v32, v6, s0
	;; [unrolled: 3-line block ×3, first 2 shown]
	v_dual_mov_b32 v9, v16 :: v_dual_mov_b32 v14, v17
	v_add_nc_u32_e32 v17, 0x66, v232
	s_clause 0x1
	global_load_b128 v[74:77], v[0:1], off
	global_load_b128 v[126:129], v[2:3], off
	v_mad_co_u64_u32 v[20:21], null, s9, v20, v[9:10]
	v_add_co_u32 v9, s0, v31, v10
	s_wait_alu 0xf1ff
	v_add_co_ci_u32_e64 v10, s0, v32, v11, s0
	v_lshlrev_b64_e32 v[11:12], 4, v[13:14]
	s_delay_alu instid0(VALU_DEP_4) | instskip(SKIP_1) | instid1(VALU_DEP_2)
	v_dual_mov_b32 v13, v19 :: v_dual_mov_b32 v16, v20
	v_mad_co_u64_u32 v[20:21], null, s8, v17, 0
	v_mad_co_u64_u32 v[13:14], null, s9, v233, v[13:14]
	s_delay_alu instid0(VALU_DEP_3) | instskip(SKIP_1) | instid1(VALU_DEP_4)
	v_lshlrev_b64_e32 v[14:15], 4, v[15:16]
	v_add_co_u32 v11, s0, v31, v11
	v_mov_b32_e32 v16, v21
	s_wait_alu 0xf1ff
	v_add_co_ci_u32_e64 v12, s0, v32, v12, s0
	v_mov_b32_e32 v19, v13
	v_add_co_u32 v13, s0, v31, v14
	v_mad_co_u64_u32 v[16:17], null, s9, v17, v[16:17]
	s_wait_alu 0xf1ff
	v_add_co_ci_u32_e64 v14, s0, v32, v15, s0
	v_mov_b32_e32 v15, v23
	v_lshlrev_b64_e32 v[17:18], 4, v[18:19]
	v_mov_b32_e32 v19, v25
	v_mov_b32_e32 v21, v16
	s_delay_alu instid0(VALU_DEP_4) | instskip(NEXT) | instid1(VALU_DEP_4)
	v_mad_co_u64_u32 v[26:27], null, s9, v26, v[15:16]
	v_add_co_u32 v15, s0, v31, v17
	s_wait_alu 0xf1ff
	v_add_co_ci_u32_e64 v16, s0, v32, v18, s0
	v_lshlrev_b64_e32 v[17:18], 4, v[20:21]
	v_mad_co_u64_u32 v[19:20], null, s9, v28, v[19:20]
	v_mov_b32_e32 v23, v26
	v_mad_co_u64_u32 v[26:27], null, s8, v33, 0
	v_mad_co_u64_u32 v[28:29], null, s8, v30, 0
	s_delay_alu instid0(VALU_DEP_3)
	v_lshlrev_b64_e32 v[20:21], 4, v[22:23]
	v_mov_b32_e32 v25, v19
	v_add_co_u32 v17, s0, v31, v17
	v_mov_b32_e32 v22, v27
	s_wait_alu 0xf1ff
	v_add_co_ci_u32_e64 v18, s0, v32, v18, s0
	v_add_co_u32 v19, s0, v31, v20
	s_delay_alu instid0(VALU_DEP_3)
	v_mad_co_u64_u32 v[22:23], null, s9, v33, v[22:23]
	v_lshlrev_b64_e32 v[23:24], 4, v[24:25]
	s_wait_alu 0xf1ff
	v_add_co_ci_u32_e64 v20, s0, v32, v21, s0
	v_mov_b32_e32 v21, v29
	v_mad_co_u64_u32 v[33:34], null, s8, v37, 0
	v_mov_b32_e32 v27, v22
	s_delay_alu instid0(VALU_DEP_3)
	v_mad_co_u64_u32 v[29:30], null, s9, v30, v[21:22]
	v_add_co_u32 v21, s0, v31, v23
	s_wait_alu 0xf1ff
	v_add_co_ci_u32_e64 v22, s0, v32, v24, s0
	v_lshlrev_b64_e32 v[24:25], 4, v[26:27]
	v_mov_b32_e32 v23, v34
	s_delay_alu instid0(VALU_DEP_1)
	v_mad_co_u64_u32 v[26:27], null, s9, v37, v[23:24]
	v_add_co_u32 v23, s0, v31, v24
	v_lshlrev_b64_e32 v[27:28], 4, v[28:29]
	s_wait_alu 0xf1ff
	v_add_co_ci_u32_e64 v24, s0, v32, v25, s0
	v_mov_b32_e32 v25, v36
	v_mad_co_u64_u32 v[37:38], null, s8, v39, 0
	v_mov_b32_e32 v34, v26
	s_delay_alu instid0(VALU_DEP_3)
	v_mad_co_u64_u32 v[29:30], null, s9, v236, v[25:26]
	v_add_co_u32 v25, s0, v31, v27
	s_wait_alu 0xf1ff
	v_add_co_ci_u32_e64 v26, s0, v32, v28, s0
	v_lshlrev_b64_e32 v[27:28], 4, v[33:34]
	v_mad_co_u64_u32 v[33:34], null, s8, v41, 0
	v_mov_b32_e32 v30, v38
	v_mov_b32_e32 v36, v29
	s_delay_alu instid0(VALU_DEP_4) | instskip(NEXT) | instid1(VALU_DEP_3)
	v_add_co_u32 v27, s0, v31, v27
	v_mad_co_u64_u32 v[29:30], null, s9, v39, v[30:31]
	v_mov_b32_e32 v30, v34
	s_delay_alu instid0(VALU_DEP_4)
	v_lshlrev_b64_e32 v[34:35], 4, v[35:36]
	v_mad_co_u64_u32 v[39:40], null, s8, v43, 0
	s_wait_alu 0xf1ff
	v_add_co_ci_u32_e64 v28, s0, v32, v28, s0
	v_mad_co_u64_u32 v[41:42], null, s9, v41, v[30:31]
	v_mov_b32_e32 v38, v29
	v_add_co_u32 v29, s0, v31, v34
	s_wait_alu 0xf1ff
	v_add_co_ci_u32_e64 v30, s0, v32, v35, s0
	s_delay_alu instid0(VALU_DEP_3) | instskip(SKIP_2) | instid1(VALU_DEP_2)
	v_lshlrev_b64_e32 v[35:36], 4, v[37:38]
	v_dual_mov_b32 v37, v40 :: v_dual_mov_b32 v34, v41
	v_mad_co_u64_u32 v[41:42], null, s8, v45, 0
	v_mad_co_u64_u32 v[37:38], null, s9, v43, v[37:38]
	v_mad_co_u64_u32 v[43:44], null, s8, v47, 0
	s_delay_alu instid0(VALU_DEP_4) | instskip(NEXT) | instid1(VALU_DEP_4)
	v_lshlrev_b64_e32 v[33:34], 4, v[33:34]
	v_mov_b32_e32 v38, v42
	v_add_co_u32 v35, s0, v31, v35
	v_mov_b32_e32 v40, v37
	s_wait_alu 0xf1ff
	v_add_co_ci_u32_e64 v36, s0, v32, v36, s0
	v_mad_co_u64_u32 v[37:38], null, s9, v45, v[38:39]
	s_delay_alu instid0(VALU_DEP_3)
	v_lshlrev_b64_e32 v[38:39], 4, v[39:40]
	v_mad_co_u64_u32 v[45:46], null, s8, v50, 0
	v_mov_b32_e32 v40, v44
	v_add_co_u32 v33, s0, v31, v33
	v_mov_b32_e32 v42, v37
	s_wait_alu 0xf1ff
	v_add_co_ci_u32_e64 v34, s0, v32, v34, s0
	v_add_co_u32 v37, s0, v31, v38
	v_mad_co_u64_u32 v[47:48], null, s9, v47, v[40:41]
	v_lshlrev_b64_e32 v[40:41], 4, v[41:42]
	s_wait_alu 0xf1ff
	v_add_co_ci_u32_e64 v38, s0, v32, v39, s0
	v_mov_b32_e32 v39, v46
	v_mad_co_u64_u32 v[48:49], null, s8, v91, 0
	v_dual_mov_b32 v44, v47 :: v_dual_add_nc_u32 v47, 0x88, v232
	s_delay_alu instid0(VALU_DEP_3) | instskip(SKIP_4) | instid1(VALU_DEP_4)
	v_mad_co_u64_u32 v[50:51], null, s9, v50, v[39:40]
	v_add_co_u32 v39, s0, v31, v40
	s_wait_alu 0xf1ff
	v_add_co_ci_u32_e64 v40, s0, v32, v41, s0
	v_lshlrev_b64_e32 v[41:42], 4, v[43:44]
	v_dual_mov_b32 v43, v49 :: v_dual_mov_b32 v46, v50
	v_mad_co_u64_u32 v[50:51], null, s8, v47, 0
	s_delay_alu instid0(VALU_DEP_2) | instskip(NEXT) | instid1(VALU_DEP_3)
	v_mad_co_u64_u32 v[43:44], null, s9, v91, v[43:44]
	v_lshlrev_b64_e32 v[44:45], 4, v[45:46]
	v_add_co_u32 v41, s0, v31, v41
	s_delay_alu instid0(VALU_DEP_4)
	v_mov_b32_e32 v46, v51
	s_wait_alu 0xf1ff
	v_add_co_ci_u32_e64 v42, s0, v32, v42, s0
	v_mov_b32_e32 v49, v43
	v_add_co_u32 v43, s0, v31, v44
	v_mad_co_u64_u32 v[46:47], null, s9, v47, v[46:47]
	s_wait_alu 0xf1ff
	v_add_co_ci_u32_e64 v44, s0, v32, v45, s0
	v_lshlrev_b64_e32 v[47:48], 4, v[48:49]
	v_mov_b32_e32 v45, v53
	s_delay_alu instid0(VALU_DEP_4) | instskip(NEXT) | instid1(VALU_DEP_2)
	v_mov_b32_e32 v51, v46
	v_mad_co_u64_u32 v[45:46], null, s9, v56, v[45:46]
	s_delay_alu instid0(VALU_DEP_4)
	v_add_co_u32 v46, s0, v31, v47
	s_wait_alu 0xf1ff
	v_add_co_ci_u32_e64 v47, s0, v32, v48, s0
	v_lshlrev_b64_e32 v[48:49], 4, v[50:51]
	v_mov_b32_e32 v50, v55
	v_mad_co_u64_u32 v[56:57], null, s8, v60, 0
	v_mov_b32_e32 v53, v45
	s_delay_alu instid0(VALU_DEP_3) | instskip(SKIP_1) | instid1(VALU_DEP_4)
	v_mad_co_u64_u32 v[50:51], null, s9, v58, v[50:51]
	v_mad_co_u64_u32 v[58:59], null, s8, v63, 0
	v_mov_b32_e32 v45, v57
	s_delay_alu instid0(VALU_DEP_4) | instskip(SKIP_2) | instid1(VALU_DEP_4)
	v_lshlrev_b64_e32 v[51:52], 4, v[52:53]
	v_add_co_u32 v48, s0, v31, v48
	v_mov_b32_e32 v55, v50
	v_mad_co_u64_u32 v[60:61], null, s9, v60, v[45:46]
	v_mov_b32_e32 v45, v59
	s_wait_alu 0xf1ff
	v_add_co_ci_u32_e64 v49, s0, v32, v49, s0
	v_add_co_u32 v61, s0, v31, v51
	v_lshlrev_b64_e32 v[50:51], 4, v[54:55]
	v_mad_co_u64_u32 v[54:55], null, s9, v63, v[45:46]
	s_wait_alu 0xf1ff
	v_add_co_ci_u32_e64 v62, s0, v32, v52, s0
	v_mad_co_u64_u32 v[52:53], null, s8, v65, 0
	v_mov_b32_e32 v57, v60
	v_add_co_u32 v63, s0, v31, v50
	v_mov_b32_e32 v59, v54
	v_mad_co_u64_u32 v[54:55], null, s8, v90, 0
	v_mov_b32_e32 v45, v53
	s_wait_alu 0xf1ff
	v_add_co_ci_u32_e64 v64, s0, v32, v51, s0
	v_lshlrev_b64_e32 v[50:51], 4, v[56:57]
	v_add_nc_u32_e32 v60, 0x99, v232
	v_mad_co_u64_u32 v[56:57], null, s9, v65, v[45:46]
	v_mov_b32_e32 v45, v55
	s_delay_alu instid0(VALU_DEP_4)
	v_add_co_u32 v65, s0, v31, v50
	s_wait_alu 0xf1ff
	v_add_co_ci_u32_e64 v66, s0, v32, v51, s0
	v_lshlrev_b64_e32 v[50:51], 4, v[58:59]
	v_mad_co_u64_u32 v[58:59], null, s9, v90, v[45:46]
	v_mov_b32_e32 v53, v56
	v_mad_co_u64_u32 v[56:57], null, s8, v60, 0
	v_add_nc_u32_e32 v59, 0xee, v232
	v_add_co_u32 v67, s0, v31, v50
	s_wait_alu 0xf1ff
	v_add_co_ci_u32_e64 v68, s0, v32, v51, s0
	v_lshlrev_b64_e32 v[50:51], 4, v[52:53]
	v_mad_co_u64_u32 v[52:53], null, s8, v59, 0
	v_mov_b32_e32 v45, v57
	v_mov_b32_e32 v55, v58
	s_delay_alu instid0(VALU_DEP_4) | instskip(NEXT) | instid1(VALU_DEP_3)
	v_add_co_u32 v78, s0, v31, v50
	v_mad_co_u64_u32 v[57:58], null, s9, v60, v[45:46]
	v_dual_mov_b32 v45, v53 :: v_dual_add_nc_u32 v58, 0x143, v232
	s_wait_alu 0xf1ff
	v_add_co_ci_u32_e64 v79, s0, v32, v51, s0
	v_lshlrev_b64_e32 v[50:51], 4, v[54:55]
	s_delay_alu instid0(VALU_DEP_3) | instskip(SKIP_1) | instid1(VALU_DEP_3)
	v_mad_co_u64_u32 v[53:54], null, s9, v59, v[45:46]
	v_mad_co_u64_u32 v[54:55], null, s8, v58, 0
	v_add_co_u32 v80, s0, v31, v50
	s_wait_alu 0xf1ff
	s_delay_alu instid0(VALU_DEP_4) | instskip(SKIP_1) | instid1(VALU_DEP_4)
	v_add_co_ci_u32_e64 v81, s0, v32, v51, s0
	v_lshlrev_b64_e32 v[50:51], 4, v[56:57]
	v_mov_b32_e32 v45, v55
	v_mad_co_u64_u32 v[56:57], null, s8, v71, 0
	s_delay_alu instid0(VALU_DEP_2)
	v_mad_co_u64_u32 v[58:59], null, s9, v58, v[45:46]
	v_mad_co_u64_u32 v[59:60], null, s8, v72, 0
	v_add_co_u32 v82, s0, v31, v50
	s_wait_alu 0xf1ff
	v_add_co_ci_u32_e64 v83, s0, v32, v51, s0
	v_lshlrev_b64_e32 v[50:51], 4, v[52:53]
	s_delay_alu instid0(VALU_DEP_4) | instskip(SKIP_1) | instid1(VALU_DEP_2)
	v_dual_mov_b32 v45, v57 :: v_dual_mov_b32 v52, v60
	v_mov_b32_e32 v55, v58
	v_mad_co_u64_u32 v[57:58], null, s9, v71, v[45:46]
	s_delay_alu instid0(VALU_DEP_3)
	v_mad_co_u64_u32 v[52:53], null, s9, v72, v[52:53]
	v_mov_b32_e32 v45, v70
	v_add_co_u32 v84, s0, v31, v50
	s_wait_alu 0xf1ff
	v_add_co_ci_u32_e64 v85, s0, v32, v51, s0
	v_lshlrev_b64_e32 v[50:51], 4, v[54:55]
	v_mov_b32_e32 v60, v52
	v_mad_co_u64_u32 v[52:53], null, s9, v73, v[45:46]
	s_delay_alu instid0(VALU_DEP_3) | instskip(SKIP_1) | instid1(VALU_DEP_4)
	v_add_co_u32 v54, s0, v31, v50
	s_wait_alu 0xf1ff
	v_add_co_ci_u32_e64 v55, s0, v32, v51, s0
	v_lshlrev_b64_e32 v[50:51], 4, v[56:57]
	s_delay_alu instid0(VALU_DEP_4) | instskip(SKIP_1) | instid1(VALU_DEP_3)
	v_mov_b32_e32 v70, v52
	v_lshlrev_b64_e32 v[0:1], 4, v[59:60]
	v_add_co_u32 v86, s0, v31, v50
	s_delay_alu instid0(VALU_DEP_3) | instskip(SKIP_2) | instid1(VALU_DEP_4)
	v_lshlrev_b64_e32 v[2:3], 4, v[69:70]
	s_wait_alu 0xf1ff
	v_add_co_ci_u32_e64 v87, s0, v32, v51, s0
	v_add_co_u32 v88, s0, v31, v0
	s_wait_alu 0xf1ff
	v_add_co_ci_u32_e64 v89, s0, v32, v1, s0
	v_add_co_u32 v31, s0, v31, v2
	s_wait_alu 0xf1ff
	v_add_co_ci_u32_e64 v32, s0, v32, v3, s0
	s_clause 0x1f
	global_load_b128 v[222:225], v[5:6], off
	global_load_b128 v[214:217], v[7:8], off
	;; [unrolled: 1-line block ×33, first 2 shown]
	s_clause 0x1
	scratch_store_b32 off, v90, off offset:16
	scratch_store_b32 off, v91, off
.LBB0_12:
	s_or_b32 exec_lo, exec_lo, s1
	s_wait_loadcnt 0x1c
	v_add_f64_e32 v[5:6], v[210:211], v[126:127]
	v_add_f64_e32 v[7:8], v[226:227], v[222:223]
	s_wait_loadcnt 0x15
	v_add_f64_e32 v[9:10], v[190:191], v[186:187]
	v_add_f64_e32 v[11:12], v[206:207], v[202:203]
	;; [unrolled: 3-line block ×3, first 2 shown]
	v_add_f64_e32 v[17:18], v[218:219], v[214:215]
	v_add_f64_e64 v[19:20], v[224:225], -v[228:229]
	v_add_f64_e64 v[21:22], v[220:221], -v[216:217]
	;; [unrolled: 1-line block ×3, first 2 shown]
	s_wait_loadcnt 0x7
	v_add_f64_e32 v[25:26], v[142:143], v[138:139]
	v_add_f64_e32 v[27:28], v[158:159], v[154:155]
	v_add_f64_e64 v[29:30], v[204:205], -v[208:209]
	v_add_f64_e64 v[31:32], v[200:201], -v[196:197]
	;; [unrolled: 1-line block ×3, first 2 shown]
	s_wait_loadcnt 0x0
	v_add_f64_e32 v[35:36], v[114:115], v[110:111]
	v_add_f64_e32 v[37:38], v[134:135], v[130:131]
	;; [unrolled: 1-line block ×6, first 2 shown]
	v_add_f64_e64 v[41:42], v[180:181], -v[184:185]
	v_add_f64_e64 v[43:44], v[176:177], -v[172:173]
	;; [unrolled: 1-line block ×8, first 2 shown]
	s_mov_b32 s12, 0xe976ee23
	s_mov_b32 s2, 0x429ad128
	s_mov_b32 s16, 0x37e14327
	s_mov_b32 s18, 0x36b3c0b5
	s_mov_b32 s13, 0x3fe11646
	s_mov_b32 s3, 0xbfebfeb5
	s_mov_b32 s17, 0x3fe948f6
	s_mov_b32 s19, 0x3fac98ee
	v_add_f64_e64 v[84:85], v[112:113], -v[116:117]
	s_mov_b32 s6, 0xb247c609
	v_add_f64_e32 v[45:46], v[7:8], v[5:6]
	s_mov_b32 s20, 0x5476071b
	v_add_f64_e32 v[66:67], v[11:12], v[9:10]
	;; [unrolled: 2-line block ×3, first 2 shown]
	v_add_f64_e64 v[90:91], v[5:6], -v[17:18]
	v_add_f64_e64 v[96:97], v[17:18], -v[7:8]
	;; [unrolled: 1-line block ×5, first 2 shown]
	v_add_f64_e32 v[94:95], v[27:28], v[25:26]
	v_add_f64_e32 v[7:8], v[21:22], v[19:20]
	v_add_f64_e64 v[98:99], v[31:32], -v[29:30]
	v_add_f64_e64 v[100:101], v[29:30], -v[33:34]
	;; [unrolled: 1-line block ×3, first 2 shown]
	v_add_f64_e32 v[102:103], v[37:38], v[35:36]
	v_add_f64_e32 v[21:22], v[31:32], v[29:30]
	v_add_f64_e64 v[29:30], v[9:10], -v[39:40]
	v_add_f64_e64 v[104:105], v[39:40], -v[11:12]
	;; [unrolled: 1-line block ×6, first 2 shown]
	v_add_f64_e32 v[106:107], v[43:44], v[41:42]
	v_add_f64_e64 v[108:109], v[43:44], -v[41:42]
	v_add_f64_e64 v[41:42], v[41:42], -v[47:48]
	v_add_f64_e32 v[234:235], v[62:63], v[60:61]
	v_add_f64_e64 v[237:238], v[62:63], -v[60:61]
	v_add_f64_e64 v[243:244], v[80:81], -v[78:79]
	s_mov_b32 s15, 0x3fd5d0dc
	s_mov_b32 s21, 0x3fe77f67
	;; [unrolled: 1-line block ×3, first 2 shown]
	s_wait_alu 0xfffe
	s_mov_b32 s14, s6
	s_mov_b32 s22, s20
	;; [unrolled: 1-line block ×4, first 2 shown]
	v_add_f64_e64 v[60:61], v[60:61], -v[68:69]
	v_add_f64_e32 v[241:242], v[80:81], v[78:79]
	v_add_f64_e32 v[17:18], v[17:18], v[45:46]
	v_add_f64_e64 v[45:46], v[13:14], -v[54:55]
	v_add_f64_e32 v[39:40], v[39:40], v[66:67]
	v_add_f64_e64 v[66:67], v[25:26], -v[64:65]
	;; [unrolled: 2-line block ×3, first 2 shown]
	v_mul_f64_e32 v[90:91], s[16:17], v[90:91]
	v_mul_f64_e32 v[88:89], s[12:13], v[88:89]
	;; [unrolled: 1-line block ×3, first 2 shown]
	v_add_f64_e64 v[13:14], v[15:16], -v[13:14]
	v_add_f64_e32 v[64:65], v[64:65], v[94:95]
	v_mul_f64_e32 v[94:95], s[18:19], v[96:97]
	v_mul_f64_e32 v[98:99], s[12:13], v[98:99]
	v_add_f64_e64 v[25:26], v[27:28], -v[25:26]
	v_add_f64_e64 v[27:28], v[68:69], -v[62:63]
	v_add_f64_e32 v[15:16], v[86:87], v[102:103]
	v_mul_f64_e32 v[102:103], s[2:3], v[100:101]
	v_add_f64_e64 v[86:87], v[86:87], -v[37:38]
	v_add_f64_e32 v[7:8], v[7:8], v[23:24]
	v_mul_f64_e32 v[23:24], s[16:17], v[29:30]
	v_mul_f64_e32 v[29:30], s[18:19], v[104:105]
	v_add_f64_e64 v[35:36], v[37:38], -v[35:36]
	v_add_f64_e64 v[78:79], v[78:79], -v[84:85]
	;; [unrolled: 1-line block ×4, first 2 shown]
	v_add_f64_e32 v[21:22], v[21:22], v[33:34]
	v_add_f64_e32 v[33:34], v[106:107], v[47:48]
	v_mul_f64_e32 v[47:48], s[12:13], v[108:109]
	v_mul_f64_e32 v[80:81], s[18:19], v[230:231]
	v_add_f64_e32 v[68:69], v[234:235], v[68:69]
	v_mul_f64_e32 v[106:107], s[12:13], v[237:238]
	v_mul_f64_e32 v[234:235], s[18:19], v[239:240]
	;; [unrolled: 1-line block ×3, first 2 shown]
	s_mov_b32 s26, 0x37c3f68c
	s_mov_b32 s27, 0xbfdc38aa
	v_cmp_eq_u32_e64 s0, 0, v232
	v_mul_f64_e32 v[108:109], s[2:3], v[60:61]
	v_add_f64_e32 v[84:85], v[241:242], v[84:85]
	v_add_f64_e32 v[62:63], v[74:75], v[17:18]
	v_mul_f64_e32 v[74:75], s[2:3], v[41:42]
	v_add_f64_e32 v[70:71], v[70:71], v[39:40]
	v_mul_f64_e32 v[45:46], s[16:17], v[45:46]
	v_mul_f64_e32 v[66:67], s[16:17], v[66:67]
	;; [unrolled: 1-line block ×3, first 2 shown]
	v_add_f64_e32 v[56:57], v[56:57], v[54:55]
	v_fma_f64 v[92:93], v[92:93], s[2:3], -v[88:89]
	v_fma_f64 v[88:89], v[19:20], s[6:7], v[88:89]
	v_fma_f64 v[11:12], v[19:20], s[14:15], -v[11:12]
	v_add_f64_e32 v[19:20], v[50:51], v[64:65]
	v_fma_f64 v[49:50], v[96:97], s[18:19], v[90:91]
	v_fma_f64 v[94:95], v[5:6], s[20:21], -v[94:95]
	s_wait_alu 0xfffe
	v_fma_f64 v[5:6], v[5:6], s[22:23], -v[90:91]
	v_fma_f64 v[90:91], v[100:101], s[2:3], -v[98:99]
	v_fma_f64 v[96:97], v[31:32], s[6:7], v[98:99]
	v_add_f64_e32 v[98:99], v[0:1], v[15:16]
	v_fma_f64 v[0:1], v[31:32], s[14:15], -v[102:103]
	v_mul_f64_e32 v[31:32], s[18:19], v[86:87]
	v_mul_hi_u32 v51, 0xaaaaaaab, v4
	v_fma_f64 v[29:30], v[9:10], s[20:21], -v[29:30]
	v_fma_f64 v[9:10], v[9:10], s[22:23], -v[23:24]
	v_mul_f64_e32 v[241:242], s[2:3], v[78:79]
	v_fma_f64 v[100:101], v[104:105], s[18:19], v[23:24]
                                        ; implicit-def: $vgpr248_vgpr249
	v_fma_f64 v[23:24], v[41:42], s[2:3], -v[47:48]
	v_fma_f64 v[41:42], v[43:44], s[6:7], v[47:48]
	v_fma_f64 v[102:103], v[25:26], s[20:21], -v[234:235]
	v_fma_f64 v[17:18], v[17:18], s[24:25], v[62:63]
	;; [unrolled: 2-line block ×3, first 2 shown]
	v_fma_f64 v[47:48], v[230:231], s[18:19], v[45:46]
	v_fma_f64 v[74:75], v[13:14], s[20:21], -v[80:81]
	v_fma_f64 v[86:87], v[86:87], s[18:19], v[82:83]
	v_fma_f64 v[82:83], v[35:36], s[22:23], -v[82:83]
	v_fma_f64 v[13:14], v[13:14], s[22:23], -v[45:46]
	v_fma_f64 v[45:46], v[54:55], s[24:25], v[56:57]
	v_fma_f64 v[54:55], v[60:61], s[2:3], -v[106:107]
	v_fma_f64 v[60:61], v[27:28], s[6:7], v[106:107]
	v_fma_f64 v[80:81], v[239:240], s[18:19], v[66:67]
	;; [unrolled: 1-line block ×3, first 2 shown]
	v_fma_f64 v[25:26], v[25:26], s[22:23], -v[66:67]
	v_fma_f64 v[66:67], v[78:79], s[2:3], -v[237:238]
	v_fma_f64 v[78:79], v[37:38], s[6:7], v[237:238]
	v_fma_f64 v[15:16], v[15:16], s[24:25], v[98:99]
	;; [unrolled: 1-line block ×3, first 2 shown]
	v_fma_f64 v[31:32], v[35:36], s[20:21], -v[31:32]
	v_lshrrev_b32_e32 v35, 1, v51
	v_fma_f64 v[90:91], v[21:22], s[26:27], v[90:91]
	v_fma_f64 v[27:28], v[27:28], s[14:15], -v[108:109]
	v_fma_f64 v[37:38], v[37:38], s[14:15], -v[241:242]
	s_delay_alu instid0(VALU_DEP_4)
	v_lshl_add_u32 v51, v35, 1, v35
	v_fma_f64 v[35:36], v[7:8], s[26:27], v[88:89]
	v_fma_f64 v[88:89], v[7:8], s[26:27], v[92:93]
	;; [unrolled: 1-line block ×4, first 2 shown]
	v_sub_nc_u32_e32 v4, v4, v51
	s_delay_alu instid0(VALU_DEP_1)
	v_mul_u32_u24_e32 v4, 0x253, v4
	v_add_f64_e32 v[5:6], v[5:6], v[17:18]
	v_add_f64_e32 v[11:12], v[49:50], v[17:18]
	;; [unrolled: 1-line block ×3, first 2 shown]
	v_fma_f64 v[49:50], v[21:22], s[26:27], v[96:97]
	v_add_f64_e32 v[21:22], v[100:101], v[39:40]
	v_add_f64_e32 v[29:30], v[29:30], v[39:40]
	v_fma_f64 v[39:40], v[33:34], s[26:27], v[41:42]
	v_fma_f64 v[33:34], v[33:34], s[26:27], v[43:44]
	v_add_f64_e32 v[41:42], v[47:48], v[45:46]
	v_add_f64_e32 v[13:14], v[13:14], v[45:46]
	;; [unrolled: 1-line block ×3, first 2 shown]
	v_fma_f64 v[45:46], v[68:69], s[26:27], v[60:61]
	v_fma_f64 v[47:48], v[68:69], s[26:27], v[54:55]
	v_add_f64_e32 v[54:55], v[80:81], v[64:65]
	v_add_f64_e32 v[25:26], v[25:26], v[64:65]
	;; [unrolled: 1-line block ×3, first 2 shown]
	v_fma_f64 v[64:65], v[84:85], s[26:27], v[78:79]
	v_add_f64_e32 v[74:75], v[82:83], v[15:16]
	v_lshlrev_b32_e32 v51, 3, v4
	v_add_f64_e32 v[17:18], v[94:95], v[17:18]
	v_fma_f64 v[66:67], v[84:85], s[26:27], v[66:67]
	v_fma_f64 v[27:28], v[68:69], s[26:27], v[27:28]
	;; [unrolled: 1-line block ×3, first 2 shown]
	v_add_nc_u32_e32 v230, 0, v51
	scratch_store_b32 off, v51, off offset:60 ; 4-byte Folded Spill
	v_add_f64_e32 v[68:69], v[86:87], v[15:16]
	v_add_f64_e32 v[15:16], v[31:32], v[15:16]
	v_mad_i32_i24 v231, v236, 56, v230
	v_add_f64_e32 v[78:79], v[7:8], v[5:6]
	v_add_f64_e64 v[6:7], v[5:6], -v[7:8]
	v_add_f64_e32 v[82:83], v[0:1], v[9:10]
	v_add_f64_e64 v[8:9], v[9:10], -v[0:1]
	v_lshlrev_b32_e32 v10, 3, v232
	v_add_f64_e32 v[31:32], v[35:36], v[11:12]
	v_add_f64_e64 v[11:12], v[11:12], -v[35:36]
	v_add_f64_e32 v[35:36], v[49:50], v[21:22]
	v_add_f64_e64 v[21:22], v[21:22], -v[49:50]
	v_add3_u32 v237, 0, v10, v51
	scratch_load_b32 v51, off, off          ; 4-byte Folded Reload
	v_add_f64_e32 v[49:50], v[39:40], v[41:42]
	v_add_f64_e32 v[86:87], v[33:34], v[13:14]
	v_add_f64_e64 v[13:14], v[13:14], -v[33:34]
	v_add_f64_e64 v[33:34], v[41:42], -v[39:40]
	v_add_f64_e32 v[39:40], v[45:46], v[54:55]
	v_add_f64_e64 v[84:85], v[29:30], -v[90:91]
	v_add_f64_e32 v[29:30], v[90:91], v[29:30]
	v_mad_u32_u24 v1, v232, 56, v230
	v_add_f64_e64 v[80:81], v[17:18], -v[88:89]
	v_add_f64_e32 v[17:18], v[88:89], v[17:18]
	v_add_f64_e32 v[41:42], v[27:28], v[25:26]
	v_add_f64_e64 v[25:26], v[25:26], -v[27:28]
	v_add_f64_e64 v[27:28], v[54:55], -v[45:46]
	v_add_f64_e32 v[54:55], v[37:38], v[74:75]
	v_add_f64_e64 v[37:38], v[74:75], -v[37:38]
	v_add_f64_e64 v[88:89], v[43:44], -v[23:24]
	v_add_f64_e32 v[23:24], v[23:24], v[43:44]
	v_add_f64_e64 v[43:44], v[60:61], -v[47:48]
	v_add_f64_e32 v[47:48], v[47:48], v[60:61]
	v_add_f64_e32 v[45:46], v[64:65], v[68:69]
	v_add_f64_e64 v[60:61], v[15:16], -v[66:67]
	v_add_f64_e32 v[15:16], v[66:67], v[15:16]
	v_add_f64_e64 v[4:5], v[68:69], -v[64:65]
	v_add_nc_u32_e32 v10, v230, v10
	v_mad_i32_i24 v0, v233, 56, v230
	v_add_nc_u32_e32 v240, 0x400, v237
	v_add_nc_u32_e32 v239, 0x800, v237
	;; [unrolled: 1-line block ×3, first 2 shown]
	s_wait_loadcnt 0x0
	v_mad_i32_i24 v75, v51, 56, v230
	scratch_load_b32 v51, off, off offset:16 ; 4-byte Folded Reload
	s_wait_loadcnt 0x0
	v_mad_i32_i24 v74, v51, 56, v230
	v_lshl_add_u32 v51, v233, 3, v230
	ds_store_2addr_b64 v1, v[62:63], v[31:32] offset1:1
	ds_store_2addr_b64 v1, v[78:79], v[80:81] offset0:2 offset1:3
	ds_store_2addr_b64 v1, v[17:18], v[6:7] offset0:4 offset1:5
	ds_store_b64 v1, v[11:12] offset:48
	ds_store_2addr_b64 v0, v[70:71], v[35:36] offset1:1
	ds_store_2addr_b64 v0, v[82:83], v[84:85] offset0:2 offset1:3
	ds_store_2addr_b64 v0, v[29:30], v[8:9] offset0:4 offset1:5
	ds_store_b64 v0, v[21:22] offset:48
	;; [unrolled: 4-line block ×5, first 2 shown]
	global_wb scope:SCOPE_SE
	s_wait_storecnt_dscnt 0x0
	s_barrier_signal -1
	s_barrier_wait -1
	global_inv scope:SCOPE_SE
	s_clause 0x1
	scratch_store_b32 off, v10, off offset:20
	scratch_store_b32 off, v51, off offset:48
	ds_load_b64 v[246:247], v10
	ds_load_b64 v[234:235], v51
	ds_load_2addr_b64 v[106:109], v237 offset0:35 offset1:52
	ds_load_2addr_b64 v[102:105], v237 offset0:70 offset1:87
	ds_load_2addr_b64 v[98:101], v237 offset0:105 offset1:122
	ds_load_2addr_b64 v[94:97], v237 offset0:140 offset1:157
	ds_load_2addr_b64 v[90:93], v237 offset0:175 offset1:192
	ds_load_2addr_b64 v[86:89], v237 offset0:210 offset1:227
	ds_load_2addr_b64 v[82:85], v240 offset0:117 offset1:134
	ds_load_2addr_b64 v[78:81], v239 offset0:24 offset1:41
	ds_load_2addr_b64 v[68:71], v239 offset0:59 offset1:76
	ds_load_2addr_b64 v[64:67], v239 offset0:94 offset1:111
	ds_load_2addr_b64 v[60:63], v239 offset0:129 offset1:146
	ds_load_2addr_b64 v[54:57], v239 offset0:164 offset1:181
	ds_load_2addr_b64 v[48:51], v239 offset0:199 offset1:216
	ds_load_2addr_b64 v[44:47], v239 offset0:234 offset1:251
	ds_load_2addr_b64 v[40:43], v238 offset0:13 offset1:30
	ds_load_2addr_b64 v[36:39], v238 offset0:48 offset1:65
                                        ; implicit-def: $vgpr10_vgpr11
                                        ; implicit-def: $vgpr14_vgpr15
                                        ; implicit-def: $vgpr18_vgpr19
                                        ; implicit-def: $vgpr22_vgpr23
                                        ; implicit-def: $vgpr26_vgpr27
                                        ; implicit-def: $vgpr30_vgpr31
                                        ; implicit-def: $vgpr34_vgpr35
	s_and_saveexec_b32 s1, s0
	s_cbranch_execz .LBB0_14
; %bb.13:
	v_add_nc_u32_e32 v8, 0x400, v230
	v_add_nc_u32_e32 v9, 0x800, v230
	;; [unrolled: 1-line block ×3, first 2 shown]
	ds_load_2addr_b64 v[4:7], v230 offset0:34 offset1:69
	ds_load_2addr_b64 v[32:35], v230 offset0:104 offset1:139
	;; [unrolled: 1-line block ×8, first 2 shown]
	ds_load_b64 v[248:249], v230 offset:4752
.LBB0_14:
	s_wait_alu 0xfffe
	s_or_b32 exec_lo, exec_lo, s1
	v_add_f64_e32 v[224:225], v[228:229], v[224:225]
	v_add_f64_e32 v[128:129], v[212:213], v[128:129]
	v_add_f64_e64 v[222:223], v[222:223], -v[226:227]
	v_add_f64_e32 v[216:217], v[220:221], v[216:217]
	v_add_f64_e64 v[214:215], v[218:219], -v[214:215]
	v_add_f64_e64 v[126:127], v[126:127], -v[210:211]
	;; [unrolled: 1-line block ×3, first 2 shown]
	v_add_f64_e32 v[132:133], v[136:137], v[132:133]
	v_add_f64_e64 v[130:131], v[130:131], -v[134:135]
	v_add_f64_e64 v[118:119], v[122:123], -v[118:119]
	v_add_f64_e32 v[112:113], v[116:117], v[112:113]
	v_add_f64_e64 v[138:139], v[138:139], -v[142:143]
	v_add_f64_e32 v[120:121], v[124:125], v[120:121]
	v_add_f64_e32 v[204:205], v[208:209], v[204:205]
	;; [unrolled: 1-line block ×3, first 2 shown]
	global_wb scope:SCOPE_SE
	s_wait_storecnt_dscnt 0x0
	s_barrier_signal -1
	s_barrier_wait -1
	global_inv scope:SCOPE_SE
	v_add_f64_e64 v[202:203], v[202:203], -v[206:207]
	v_add_f64_e64 v[194:195], v[198:199], -v[194:195]
	;; [unrolled: 1-line block ×3, first 2 shown]
	v_add_f64_e32 v[196:197], v[200:201], v[196:197]
	v_add_f64_e32 v[180:181], v[184:185], v[180:181]
	;; [unrolled: 1-line block ×3, first 2 shown]
	v_add_f64_e64 v[178:179], v[178:179], -v[182:183]
	v_add_f64_e64 v[170:171], v[174:175], -v[170:171]
	;; [unrolled: 1-line block ×3, first 2 shown]
	v_add_f64_e32 v[172:173], v[176:177], v[172:173]
	v_add_f64_e64 v[154:155], v[154:155], -v[158:159]
	v_add_f64_e64 v[146:147], v[150:151], -v[146:147]
	v_add_f64_e32 v[156:157], v[160:161], v[156:157]
	v_add_f64_e32 v[148:149], v[152:153], v[148:149]
	;; [unrolled: 1-line block ×3, first 2 shown]
                                        ; implicit-def: $vgpr250_vgpr251
	v_add_f64_e32 v[114:115], v[224:225], v[128:129]
	v_add_f64_e64 v[122:123], v[224:225], -v[128:129]
	v_add_f64_e64 v[116:117], v[128:129], -v[216:217]
	v_add_f64_e32 v[128:129], v[214:215], v[222:223]
	v_add_f64_e64 v[134:135], v[214:215], -v[222:223]
	v_add_f64_e64 v[136:137], v[222:223], -v[126:127]
	v_add_f64_e64 v[124:125], v[216:217], -v[224:225]
	v_add_f64_e64 v[142:143], v[126:127], -v[214:215]
	v_add_f64_e64 v[144:145], v[138:139], -v[146:147]
	v_add_f64_e32 v[114:115], v[216:217], v[114:115]
	v_mul_f64_e32 v[116:117], s[16:17], v[116:117]
	v_add_f64_e32 v[126:127], v[128:129], v[126:127]
	v_mul_f64_e32 v[128:129], s[12:13], v[134:135]
	v_mul_f64_e32 v[134:135], s[2:3], v[136:137]
	v_add_f64_e32 v[76:77], v[76:77], v[114:115]
	s_delay_alu instid0(VALU_DEP_3) | instskip(SKIP_1) | instid1(VALU_DEP_4)
	v_fma_f64 v[136:137], v[136:137], s[2:3], -v[128:129]
	v_fma_f64 v[128:129], v[142:143], s[6:7], v[128:129]
	v_fma_f64 v[134:135], v[142:143], s[14:15], -v[134:135]
	v_mul_f64_e32 v[142:143], s[18:19], v[124:125]
	v_fma_f64 v[124:125], v[124:125], s[18:19], v[116:117]
	v_fma_f64 v[116:117], v[122:123], s[22:23], -v[116:117]
	v_fma_f64 v[114:115], v[114:115], s[24:25], v[76:77]
	v_fma_f64 v[136:137], v[126:127], s[26:27], v[136:137]
	;; [unrolled: 1-line block ×4, first 2 shown]
	v_fma_f64 v[122:123], v[122:123], s[20:21], -v[142:143]
	v_add_f64_e32 v[124:125], v[124:125], v[114:115]
	v_add_f64_e32 v[116:117], v[116:117], v[114:115]
	s_delay_alu instid0(VALU_DEP_3) | instskip(NEXT) | instid1(VALU_DEP_3)
	v_add_f64_e32 v[114:115], v[122:123], v[114:115]
	v_add_f64_e64 v[122:123], v[124:125], -v[128:129]
	s_delay_alu instid0(VALU_DEP_3) | instskip(NEXT) | instid1(VALU_DEP_3)
	v_add_f64_e64 v[134:135], v[116:117], -v[126:127]
	v_add_f64_e32 v[142:143], v[136:137], v[114:115]
	ds_store_2addr_b64 v1, v[76:77], v[122:123] offset1:1
	ds_store_2addr_b64 v1, v[134:135], v[142:143] offset0:2 offset1:3
	v_add_f64_e64 v[76:77], v[114:115], -v[136:137]
	v_add_f64_e32 v[114:115], v[126:127], v[116:117]
	v_add_f64_e32 v[116:117], v[128:129], v[124:125]
	v_add_f64_e64 v[126:127], v[194:195], -v[202:203]
	v_add_f64_e64 v[128:129], v[202:203], -v[186:187]
	;; [unrolled: 1-line block ×4, first 2 shown]
	v_add_f64_e32 v[124:125], v[194:195], v[202:203]
	v_add_f64_e64 v[142:143], v[154:155], -v[138:139]
	ds_store_2addr_b64 v1, v[76:77], v[114:115] offset0:4 offset1:5
	ds_store_b64 v1, v[116:117] offset:48
	v_add_f64_e32 v[76:77], v[204:205], v[188:189]
	v_add_f64_e64 v[114:115], v[188:189], -v[196:197]
	v_mul_f64_e32 v[126:127], s[12:13], v[126:127]
	v_mul_f64_e32 v[136:137], s[2:3], v[128:129]
	v_add_f64_e64 v[116:117], v[204:205], -v[188:189]
	v_add_f64_e32 v[124:125], v[124:125], v[186:187]
	v_add_f64_e32 v[76:77], v[196:197], v[76:77]
	v_mul_f64_e32 v[114:115], s[16:17], v[114:115]
	v_fma_f64 v[128:129], v[128:129], s[2:3], -v[126:127]
	v_fma_f64 v[126:127], v[134:135], s[6:7], v[126:127]
	v_fma_f64 v[134:135], v[134:135], s[14:15], -v[136:137]
	v_mul_f64_e32 v[136:137], s[18:19], v[122:123]
	v_add_f64_e32 v[72:73], v[72:73], v[76:77]
	v_fma_f64 v[122:123], v[122:123], s[18:19], v[114:115]
	v_fma_f64 v[114:115], v[116:117], s[22:23], -v[114:115]
	v_fma_f64 v[126:127], v[124:125], s[26:27], v[126:127]
	v_fma_f64 v[128:129], v[124:125], s[26:27], v[128:129]
	v_fma_f64 v[116:117], v[116:117], s[20:21], -v[136:137]
	v_fma_f64 v[124:125], v[124:125], s[26:27], v[134:135]
	v_fma_f64 v[76:77], v[76:77], s[24:25], v[72:73]
	s_delay_alu instid0(VALU_DEP_1) | instskip(SKIP_2) | instid1(VALU_DEP_3)
	v_add_f64_e32 v[122:123], v[122:123], v[76:77]
	v_add_f64_e32 v[114:115], v[114:115], v[76:77]
	;; [unrolled: 1-line block ×3, first 2 shown]
	v_add_f64_e64 v[116:117], v[122:123], -v[126:127]
	s_delay_alu instid0(VALU_DEP_3) | instskip(NEXT) | instid1(VALU_DEP_3)
	v_add_f64_e64 v[134:135], v[114:115], -v[124:125]
	v_add_f64_e32 v[136:137], v[128:129], v[76:77]
	ds_store_2addr_b64 v0, v[72:73], v[116:117] offset1:1
	ds_store_2addr_b64 v0, v[134:135], v[136:137] offset0:2 offset1:3
	v_add_f64_e64 v[72:73], v[76:77], -v[128:129]
	v_add_f64_e32 v[76:77], v[124:125], v[114:115]
	v_add_f64_e32 v[114:115], v[126:127], v[122:123]
	v_add_f64_e64 v[122:123], v[170:171], -v[178:179]
	v_add_f64_e64 v[124:125], v[178:179], -v[162:163]
	;; [unrolled: 1-line block ×3, first 2 shown]
	v_add_f64_e32 v[116:117], v[170:171], v[178:179]
	v_add_f64_e32 v[134:135], v[132:133], v[112:113]
	v_add_f64_e64 v[136:137], v[112:113], -v[120:121]
	v_add_f64_e64 v[112:113], v[132:133], -v[112:113]
	v_add_f64_e64 v[132:133], v[120:121], -v[132:133]
	ds_store_2addr_b64 v0, v[72:73], v[76:77] offset0:4 offset1:5
	ds_store_b64 v0, v[114:115] offset:48
	v_add_f64_e32 v[0:1], v[180:181], v[164:165]
	v_add_f64_e64 v[72:73], v[164:165], -v[172:173]
	v_add_f64_e64 v[114:115], v[172:173], -v[180:181]
	v_mul_f64_e32 v[122:123], s[12:13], v[122:123]
	v_mul_f64_e32 v[128:129], s[2:3], v[124:125]
	v_add_f64_e64 v[76:77], v[180:181], -v[164:165]
	v_add_f64_e32 v[116:117], v[116:117], v[162:163]
	v_add_f64_e32 v[120:121], v[120:121], v[134:135]
	;; [unrolled: 1-line block ×3, first 2 shown]
	v_mul_f64_e32 v[136:137], s[16:17], v[136:137]
	v_add_f64_e32 v[0:1], v[172:173], v[0:1]
	v_mul_f64_e32 v[72:73], s[16:17], v[72:73]
	v_fma_f64 v[124:125], v[124:125], s[2:3], -v[122:123]
	v_fma_f64 v[122:123], v[126:127], s[6:7], v[122:123]
	v_fma_f64 v[126:127], v[126:127], s[14:15], -v[128:129]
	v_mul_f64_e32 v[128:129], s[18:19], v[114:115]
	v_add_f64_e32 v[2:3], v[2:3], v[120:121]
	v_add_f64_e32 v[134:135], v[134:135], v[138:139]
	;; [unrolled: 1-line block ×4, first 2 shown]
	v_fma_f64 v[114:115], v[114:115], s[18:19], v[72:73]
	v_fma_f64 v[72:73], v[76:77], s[22:23], -v[72:73]
	v_fma_f64 v[124:125], v[116:117], s[26:27], v[124:125]
	v_fma_f64 v[122:123], v[116:117], s[26:27], v[122:123]
	v_fma_f64 v[116:117], v[116:117], s[26:27], v[126:127]
	v_fma_f64 v[76:77], v[76:77], s[20:21], -v[128:129]
	v_fma_f64 v[0:1], v[0:1], s[24:25], v[58:59]
	s_delay_alu instid0(VALU_DEP_1) | instskip(SKIP_1) | instid1(VALU_DEP_4)
	v_add_f64_e32 v[114:115], v[114:115], v[0:1]
	v_add_f64_e32 v[72:73], v[72:73], v[0:1]
	;; [unrolled: 1-line block ×3, first 2 shown]
	s_delay_alu instid0(VALU_DEP_3) | instskip(NEXT) | instid1(VALU_DEP_3)
	v_add_f64_e64 v[76:77], v[114:115], -v[122:123]
	v_add_f64_e64 v[126:127], v[72:73], -v[116:117]
	s_delay_alu instid0(VALU_DEP_3)
	v_add_f64_e32 v[128:129], v[124:125], v[0:1]
	v_add_f64_e32 v[72:73], v[116:117], v[72:73]
	v_fma_f64 v[116:117], v[120:121], s[24:25], v[2:3]
	v_add_f64_e64 v[0:1], v[0:1], -v[124:125]
	v_add_f64_e32 v[114:115], v[122:123], v[114:115]
	ds_store_2addr_b64 v231, v[58:59], v[76:77] offset1:1
	ds_store_2addr_b64 v231, v[126:127], v[128:129] offset0:2 offset1:3
	v_add_f64_e32 v[58:59], v[156:157], v[140:141]
	v_add_f64_e64 v[76:77], v[140:141], -v[148:149]
	v_add_f64_e64 v[126:127], v[156:157], -v[140:141]
	;; [unrolled: 1-line block ×7, first 2 shown]
	v_add_f64_e32 v[110:111], v[138:139], v[110:111]
	ds_store_2addr_b64 v231, v[0:1], v[72:73] offset0:4 offset1:5
	v_add_f64_e32 v[58:59], v[148:149], v[58:59]
	v_mul_f64_e32 v[76:77], s[16:17], v[76:77]
	v_mul_f64_e32 v[138:139], s[12:13], v[140:141]
	v_mul_f64_e32 v[140:141], s[2:3], v[142:143]
	s_delay_alu instid0(VALU_DEP_4) | instskip(NEXT) | instid1(VALU_DEP_3)
	v_add_f64_e32 v[52:53], v[52:53], v[58:59]
	v_fma_f64 v[142:143], v[142:143], s[2:3], -v[138:139]
	v_fma_f64 v[138:139], v[144:145], s[6:7], v[138:139]
	s_delay_alu instid0(VALU_DEP_4)
	v_fma_f64 v[140:141], v[144:145], s[14:15], -v[140:141]
	v_mul_f64_e32 v[144:145], s[18:19], v[128:129]
	v_fma_f64 v[128:129], v[128:129], s[18:19], v[76:77]
	v_fma_f64 v[76:77], v[126:127], s[22:23], -v[76:77]
	v_fma_f64 v[58:59], v[58:59], s[24:25], v[52:53]
	v_fma_f64 v[142:143], v[134:135], s[26:27], v[142:143]
	;; [unrolled: 1-line block ×4, first 2 shown]
	v_fma_f64 v[144:145], v[126:127], s[20:21], -v[144:145]
	v_mul_f64_e32 v[126:127], s[12:13], v[146:147]
	v_mul_f64_e32 v[146:147], s[2:3], v[130:131]
	v_add_f64_e32 v[76:77], v[76:77], v[58:59]
	s_delay_alu instid0(VALU_DEP_3) | instskip(SKIP_1) | instid1(VALU_DEP_4)
	v_fma_f64 v[130:131], v[130:131], s[2:3], -v[126:127]
	v_fma_f64 v[126:127], v[118:119], s[6:7], v[126:127]
	v_fma_f64 v[118:119], v[118:119], s[14:15], -v[146:147]
	v_mul_f64_e32 v[146:147], s[18:19], v[132:133]
	v_fma_f64 v[132:133], v[132:133], s[18:19], v[136:137]
	v_fma_f64 v[136:137], v[112:113], s[22:23], -v[136:137]
	v_add_f64_e64 v[124:125], v[76:77], -v[134:135]
	v_add_f64_e32 v[76:77], v[134:135], v[76:77]
	v_fma_f64 v[130:131], v[110:111], s[26:27], v[130:131]
	v_fma_f64 v[126:127], v[110:111], s[26:27], v[126:127]
	;; [unrolled: 1-line block ×3, first 2 shown]
	v_fma_f64 v[112:113], v[112:113], s[20:21], -v[146:147]
	v_add_f64_e32 v[118:119], v[128:129], v[58:59]
	v_add_f64_e32 v[58:59], v[144:145], v[58:59]
	;; [unrolled: 1-line block ×3, first 2 shown]
	s_delay_alu instid0(VALU_DEP_4)
	v_add_f64_e32 v[112:113], v[112:113], v[116:117]
	v_add_f64_e32 v[116:117], v[136:137], v[116:117]
	v_add_f64_e64 v[128:129], v[118:119], -v[138:139]
	v_add_f64_e32 v[122:123], v[142:143], v[58:59]
	v_add_f64_e64 v[58:59], v[58:59], -v[142:143]
	;; [unrolled: 2-line block ×3, first 2 shown]
	v_add_f64_e32 v[0:1], v[126:127], v[120:121]
                                        ; implicit-def: $vgpr120_vgpr121
	v_add_f64_e32 v[132:133], v[130:131], v[112:113]
	v_add_f64_e64 v[112:113], v[112:113], -v[130:131]
	v_add_f64_e64 v[130:131], v[116:117], -v[110:111]
	v_add_f64_e32 v[110:111], v[110:111], v[116:117]
                                        ; implicit-def: $vgpr116_vgpr117
	ds_store_b64 v231, v[114:115] offset:48
	ds_store_2addr_b64 v75, v[52:53], v[128:129] offset1:1
	ds_store_2addr_b64 v75, v[124:125], v[122:123] offset0:2 offset1:3
	ds_store_2addr_b64 v75, v[58:59], v[76:77] offset0:4 offset1:5
	ds_store_b64 v75, v[118:119] offset:48
	ds_store_2addr_b64 v74, v[2:3], v[72:73] offset1:1
	ds_store_2addr_b64 v74, v[130:131], v[132:133] offset0:2 offset1:3
	ds_store_2addr_b64 v74, v[112:113], v[110:111] offset0:4 offset1:5
	ds_store_b64 v74, v[0:1] offset:48
	global_wb scope:SCOPE_SE
	s_wait_dscnt 0x0
	s_barrier_signal -1
	s_barrier_wait -1
	global_inv scope:SCOPE_SE
	ds_load_2addr_b64 v[170:173], v240 offset0:117 offset1:134
	ds_load_2addr_b64 v[166:169], v239 offset0:24 offset1:41
	;; [unrolled: 1-line block ×6, first 2 shown]
	scratch_load_b32 v2, off, off offset:20 ; 4-byte Folded Reload
                                        ; implicit-def: $vgpr74_vgpr75
                                        ; implicit-def: $vgpr112_vgpr113
                                        ; implicit-def: $vgpr124_vgpr125
                                        ; implicit-def: $vgpr128_vgpr129
                                        ; implicit-def: $vgpr132_vgpr133
	s_wait_loadcnt 0x0
	ds_load_b64 v[216:217], v2
	v_lshl_add_u32 v2, v233, 3, v230
	ds_load_b64 v[52:53], v2
	ds_load_2addr_b64 v[146:149], v239 offset0:199 offset1:216
	ds_load_2addr_b64 v[142:145], v239 offset0:234 offset1:251
	;; [unrolled: 1-line block ×10, first 2 shown]
	s_and_saveexec_b32 s1, s0
	s_cbranch_execz .LBB0_16
; %bb.15:
	v_add_nc_u32_e32 v58, 0x400, v230
	v_add_nc_u32_e32 v59, 0x800, v230
	;; [unrolled: 1-line block ×3, first 2 shown]
	ds_load_2addr_b64 v[0:3], v230 offset0:34 offset1:69
	ds_load_2addr_b64 v[130:133], v230 offset0:104 offset1:139
	;; [unrolled: 1-line block ×8, first 2 shown]
	ds_load_b64 v[250:251], v230 offset:4752
.LBB0_16:
	s_wait_alu 0xfffe
	s_or_b32 exec_lo, exec_lo, s1
	v_and_b32_e32 v58, 0xff, v232
	v_and_b32_e32 v77, 0xff, v233
	s_mov_b32 s2, 0x2a9d6da3
	s_mov_b32 s3, 0xbfe58eea
	;; [unrolled: 1-line block ×3, first 2 shown]
	v_mul_lo_u16 v58, v58, 37
	v_mul_lo_u16 v77, v77, 37
	s_mov_b32 s7, 0x3fe7a5f6
	s_mov_b32 s12, 0xeb564b22
	;; [unrolled: 1-line block ×3, first 2 shown]
	v_lshrrev_b16 v58, 8, v58
	v_lshrrev_b16 v77, 8, v77
	s_mov_b32 s14, 0x3259b75e
	s_mov_b32 s15, 0x3fb79ee6
	;; [unrolled: 1-line block ×3, first 2 shown]
	v_sub_nc_u16 v59, v232, v58
	s_mov_b32 s17, 0xbfeca52d
	s_mov_b32 s18, 0x2b2883cd
	;; [unrolled: 1-line block ×4, first 2 shown]
	v_lshrrev_b16 v59, 1, v59
	s_mov_b32 s21, 0xbfe9895b
	s_mov_b32 s22, 0x6ed5f1bb
	;; [unrolled: 1-line block ×4, first 2 shown]
	v_and_b32_e32 v59, 0x7f, v59
	s_mov_b32 s25, 0xbfc7851a
	s_mov_b32 s27, 0x3fc7851a
	s_wait_alu 0xfffe
	s_mov_b32 s26, s24
	s_mov_b32 s28, 0x7faef3
	v_add_nc_u16 v58, v59, v58
	s_mov_b32 s29, 0xbfef7484
	s_mov_b32 s30, 0x923c349f
	;; [unrolled: 1-line block ×4, first 2 shown]
	v_lshrrev_b16 v58, 2, v58
	s_mov_b32 s34, s30
	s_mov_b32 s36, 0xc61f0d01
	;; [unrolled: 1-line block ×4, first 2 shown]
	v_mul_lo_u16 v59, v58, 7
	s_mov_b32 s39, 0xbfe0d888
	s_mov_b32 s43, 0x3fe0d888
	;; [unrolled: 1-line block ×4, first 2 shown]
	v_sub_nc_u16 v59, v232, v59
	s_mov_b32 s41, 0xbfeb34fa
	s_mov_b32 s45, 0x3fe58eea
	;; [unrolled: 1-line block ×4, first 2 shown]
	v_and_b32_e32 v59, 0xff, v59
	s_mov_b32 s49, 0xbfd71e95
	s_mov_b32 s50, 0x370991
	s_mov_b32 s51, 0x3fedd6d0
	s_mov_b32 s47, 0x3feca52d
	v_lshlrev_b32_e32 v76, 8, v59
	s_mov_b32 s46, s16
	s_mov_b32 s53, 0x3fd71e95
	;; [unrolled: 1-line block ×4, first 2 shown]
	s_clause 0x1
	global_load_b128 v[198:201], v76, s[4:5]
	global_load_b128 v[202:205], v76, s[4:5] offset:16
	s_mov_b32 s54, s12
	s_mov_b32 s57, 0x3fe9895b
	;; [unrolled: 1-line block ×3, first 2 shown]
	s_wait_loadcnt_dscnt 0x105
	v_mul_f64_e32 v[206:207], v[194:195], v[200:201]
	s_delay_alu instid0(VALU_DEP_1) | instskip(SKIP_1) | instid1(VALU_DEP_1)
	v_fma_f64 v[214:215], v[106:107], v[198:199], v[206:207]
	v_mul_f64_e32 v[106:107], v[106:107], v[200:201]
	v_fma_f64 v[252:253], v[194:195], v[198:199], -v[106:107]
	v_sub_nc_u16 v106, v233, v77
	s_delay_alu instid0(VALU_DEP_1) | instskip(NEXT) | instid1(VALU_DEP_1)
	v_lshrrev_b16 v106, 1, v106
	v_and_b32_e32 v106, 0x7f, v106
	s_delay_alu instid0(VALU_DEP_1) | instskip(NEXT) | instid1(VALU_DEP_1)
	v_add_nc_u16 v77, v106, v77
	v_lshrrev_b16 v77, 2, v77
	scratch_store_b32 off, v77, off offset:336 ; 4-byte Folded Spill
	v_mul_lo_u16 v77, v77, 7
	s_delay_alu instid0(VALU_DEP_1) | instskip(NEXT) | instid1(VALU_DEP_1)
	v_sub_nc_u16 v77, v233, v77
	v_and_b32_e32 v77, 0xff, v77
	s_delay_alu instid0(VALU_DEP_1)
	v_lshlrev_b32_e32 v230, 8, v77
	scratch_store_b32 off, v77, off offset:352 ; 4-byte Folded Spill
	s_clause 0x1
	global_load_b128 v[198:201], v230, s[4:5]
	global_load_b128 v[206:209], v230, s[4:5] offset:16
	s_wait_loadcnt 0x1
	v_mul_f64_e32 v[194:195], v[196:197], v[200:201]
	s_delay_alu instid0(VALU_DEP_1) | instskip(SKIP_2) | instid1(VALU_DEP_1)
	v_fma_f64 v[226:227], v[108:109], v[198:199], v[194:195]
	v_mul_f64_e32 v[108:109], v[108:109], v[200:201]
	v_and_b32_e32 v58, 0xffff, v58
	v_mad_u32_u24 v58, 0x3b8, v58, 0
	s_delay_alu instid0(VALU_DEP_3) | instskip(SKIP_2) | instid1(VALU_DEP_1)
	v_fma_f64 v[228:229], v[196:197], v[198:199], -v[108:109]
	s_wait_dscnt 0x4
	v_mul_f64_e32 v[108:109], v[190:191], v[204:205]
	v_fma_f64 v[212:213], v[102:103], v[202:203], v[108:109]
	v_mul_f64_e32 v[102:103], v[102:103], v[204:205]
	s_delay_alu instid0(VALU_DEP_1) | instskip(SKIP_2) | instid1(VALU_DEP_1)
	v_fma_f64 v[190:191], v[190:191], v[202:203], -v[102:103]
	s_wait_loadcnt 0x0
	v_mul_f64_e32 v[102:103], v[192:193], v[208:209]
	v_fma_f64 v[224:225], v[104:105], v[206:207], v[102:103]
	v_mul_f64_e32 v[102:103], v[104:105], v[208:209]
	s_delay_alu instid0(VALU_DEP_1)
	v_fma_f64 v[102:103], v[192:193], v[206:207], -v[102:103]
	scratch_store_b64 off, v[102:103], off offset:40 ; 8-byte Folded Spill
	s_clause 0x1
	global_load_b128 v[198:201], v76, s[4:5] offset:32
	global_load_b128 v[202:205], v76, s[4:5] offset:48
	s_wait_loadcnt_dscnt 0x103
	v_mul_f64_e32 v[102:103], v[186:187], v[200:201]
	s_delay_alu instid0(VALU_DEP_1) | instskip(SKIP_1) | instid1(VALU_DEP_1)
	v_fma_f64 v[210:211], v[98:99], v[198:199], v[102:103]
	v_mul_f64_e32 v[98:99], v[98:99], v[200:201]
	v_fma_f64 v[186:187], v[186:187], v[198:199], -v[98:99]
	s_clause 0x1
	global_load_b128 v[198:201], v230, s[4:5] offset:32
	global_load_b128 v[206:209], v230, s[4:5] offset:48
	s_wait_loadcnt 0x1
	v_mul_f64_e32 v[104:105], v[188:189], v[200:201]
	s_delay_alu instid0(VALU_DEP_1) | instskip(SKIP_1) | instid1(VALU_DEP_1)
	v_fma_f64 v[220:221], v[100:101], v[198:199], v[104:105]
	v_mul_f64_e32 v[100:101], v[100:101], v[200:201]
	v_fma_f64 v[98:99], v[188:189], v[198:199], -v[100:101]
	s_wait_dscnt 0x2
	v_mul_f64_e32 v[100:101], v[182:183], v[204:205]
	s_delay_alu instid0(VALU_DEP_1) | instskip(SKIP_1) | instid1(VALU_DEP_1)
	v_fma_f64 v[196:197], v[94:95], v[202:203], v[100:101]
	v_mul_f64_e32 v[94:95], v[94:95], v[204:205]
	v_fma_f64 v[182:183], v[182:183], v[202:203], -v[94:95]
	s_wait_loadcnt 0x0
	v_mul_f64_e32 v[94:95], v[184:185], v[208:209]
	s_delay_alu instid0(VALU_DEP_1) | instskip(SKIP_1) | instid1(VALU_DEP_1)
	v_fma_f64 v[218:219], v[96:97], v[206:207], v[94:95]
	v_mul_f64_e32 v[94:95], v[96:97], v[208:209]
	v_fma_f64 v[94:95], v[184:185], v[206:207], -v[94:95]
	s_clause 0x1
	scratch_store_b64 off, v[98:99], off offset:32
	scratch_store_b64 off, v[94:95], off offset:24
	s_clause 0x1
	global_load_b128 v[94:97], v76, s[4:5] offset:64
	global_load_b128 v[198:201], v76, s[4:5] offset:80
	s_wait_loadcnt_dscnt 0x101
	v_mul_f64_e32 v[100:101], v[178:179], v[96:97]
	s_delay_alu instid0(VALU_DEP_1) | instskip(SKIP_1) | instid1(VALU_DEP_1)
	v_fma_f64 v[106:107], v[90:91], v[94:95], v[100:101]
	v_mul_f64_e32 v[90:91], v[90:91], v[96:97]
	v_fma_f64 v[108:109], v[178:179], v[94:95], -v[90:91]
	s_clause 0x1
	global_load_b128 v[94:97], v230, s[4:5] offset:64
	global_load_b128 v[202:205], v230, s[4:5] offset:80
	s_wait_loadcnt 0x1
	v_mul_f64_e32 v[90:91], v[180:181], v[96:97]
	s_delay_alu instid0(VALU_DEP_1) | instskip(SKIP_1) | instid1(VALU_DEP_1)
	v_fma_f64 v[222:223], v[92:93], v[94:95], v[90:91]
	v_mul_f64_e32 v[90:91], v[92:93], v[96:97]
	v_fma_f64 v[208:209], v[180:181], v[94:95], -v[90:91]
	s_wait_dscnt 0x0
	v_mul_f64_e32 v[90:91], v[174:175], v[200:201]
	s_delay_alu instid0(VALU_DEP_1) | instskip(SKIP_1) | instid1(VALU_DEP_1)
	v_fma_f64 v[242:243], v[86:87], v[198:199], v[90:91]
	v_mul_f64_e32 v[86:87], v[86:87], v[200:201]
	v_fma_f64 v[104:105], v[174:175], v[198:199], -v[86:87]
	s_wait_loadcnt 0x0
	v_mul_f64_e32 v[86:87], v[176:177], v[204:205]
	s_delay_alu instid0(VALU_DEP_1) | instskip(SKIP_1) | instid1(VALU_DEP_1)
	v_fma_f64 v[206:207], v[88:89], v[202:203], v[86:87]
	v_mul_f64_e32 v[86:87], v[88:89], v[204:205]
	v_fma_f64 v[202:203], v[176:177], v[202:203], -v[86:87]
	s_clause 0x1
	global_load_b128 v[86:89], v76, s[4:5] offset:96
	global_load_b128 v[90:93], v76, s[4:5] offset:112
	s_wait_loadcnt 0x1
	v_mul_f64_e32 v[94:95], v[170:171], v[88:89]
	s_delay_alu instid0(VALU_DEP_1) | instskip(SKIP_1) | instid1(VALU_DEP_1)
	v_fma_f64 v[98:99], v[82:83], v[86:87], v[94:95]
	v_mul_f64_e32 v[82:83], v[82:83], v[88:89]
	v_fma_f64 v[100:101], v[170:171], v[86:87], -v[82:83]
	s_clause 0x1
	global_load_b128 v[86:89], v230, s[4:5] offset:96
	global_load_b128 v[94:97], v230, s[4:5] offset:112
	s_wait_loadcnt 0x1
	v_mul_f64_e32 v[82:83], v[172:173], v[88:89]
	s_delay_alu instid0(VALU_DEP_1) | instskip(SKIP_1) | instid1(VALU_DEP_1)
	v_fma_f64 v[204:205], v[84:85], v[86:87], v[82:83]
	v_mul_f64_e32 v[82:83], v[84:85], v[88:89]
	v_fma_f64 v[200:201], v[172:173], v[86:87], -v[82:83]
	v_mul_f64_e32 v[82:83], v[166:167], v[92:93]
	s_delay_alu instid0(VALU_DEP_1) | instskip(SKIP_1) | instid1(VALU_DEP_1)
	v_fma_f64 v[102:103], v[78:79], v[90:91], v[82:83]
	v_mul_f64_e32 v[77:78], v[78:79], v[92:93]
	v_fma_f64 v[91:92], v[166:167], v[90:91], -v[77:78]
	s_wait_loadcnt 0x0
	v_mul_f64_e32 v[77:78], v[168:169], v[96:97]
	s_delay_alu instid0(VALU_DEP_1) | instskip(SKIP_1) | instid1(VALU_DEP_1)
	v_fma_f64 v[89:90], v[80:81], v[94:95], v[77:78]
	v_mul_f64_e32 v[77:78], v[80:81], v[96:97]
	v_fma_f64 v[198:199], v[168:169], v[94:95], -v[77:78]
	s_clause 0x1
	global_load_b128 v[77:80], v76, s[4:5] offset:128
	global_load_b128 v[81:84], v76, s[4:5] offset:144
	s_wait_loadcnt 0x1
	v_mul_f64_e32 v[85:86], v[162:163], v[79:80]
	s_delay_alu instid0(VALU_DEP_1) | instskip(SKIP_1) | instid1(VALU_DEP_1)
	v_fma_f64 v[240:241], v[68:69], v[77:78], v[85:86]
	v_mul_f64_e32 v[68:69], v[68:69], v[79:80]
	v_fma_f64 v[93:94], v[162:163], v[77:78], -v[68:69]
	s_clause 0x1
	global_load_b128 v[77:80], v230, s[4:5] offset:128
	global_load_b128 v[85:88], v230, s[4:5] offset:144
	s_wait_loadcnt 0x1
	v_mul_f64_e32 v[68:69], v[164:165], v[79:80]
	s_delay_alu instid0(VALU_DEP_1) | instskip(SKIP_2) | instid1(VALU_DEP_1)
	v_fma_f64 v[68:69], v[70:71], v[77:78], v[68:69]
	scratch_store_b64 off, v[68:69], off offset:616 ; 8-byte Folded Spill
	v_mul_f64_e32 v[68:69], v[70:71], v[79:80]
	v_fma_f64 v[164:165], v[164:165], v[77:78], -v[68:69]
	v_mul_f64_e32 v[68:69], v[158:159], v[83:84]
	s_delay_alu instid0(VALU_DEP_1) | instskip(SKIP_1) | instid1(VALU_DEP_2)
	v_fma_f64 v[238:239], v[64:65], v[81:82], v[68:69]
	v_mul_f64_e32 v[64:65], v[64:65], v[83:84]
	v_add_f64_e32 v[254:255], v[98:99], v[238:239]
	s_delay_alu instid0(VALU_DEP_2) | instskip(SKIP_2) | instid1(VALU_DEP_1)
	v_fma_f64 v[81:82], v[158:159], v[81:82], -v[64:65]
	s_wait_loadcnt 0x0
	v_mul_f64_e32 v[64:65], v[160:161], v[87:88]
	v_fma_f64 v[158:159], v[66:67], v[85:86], v[64:65]
	v_mul_f64_e32 v[64:65], v[66:67], v[87:88]
	s_delay_alu instid0(VALU_DEP_1)
	v_fma_f64 v[160:161], v[160:161], v[85:86], -v[64:65]
	s_clause 0x1
	global_load_b128 v[64:67], v76, s[4:5] offset:160
	global_load_b128 v[68:71], v76, s[4:5] offset:176
	s_wait_loadcnt 0x1
	v_mul_f64_e32 v[77:78], v[154:155], v[66:67]
	s_delay_alu instid0(VALU_DEP_1) | instskip(SKIP_1) | instid1(VALU_DEP_1)
	v_fma_f64 v[244:245], v[60:61], v[64:65], v[77:78]
	v_mul_f64_e32 v[60:61], v[60:61], v[66:67]
	v_fma_f64 v[83:84], v[154:155], v[64:65], -v[60:61]
	s_clause 0x1
	global_load_b128 v[64:67], v230, s[4:5] offset:160
	global_load_b128 v[77:80], v230, s[4:5] offset:176
	s_wait_loadcnt 0x1
	v_mul_f64_e32 v[60:61], v[156:157], v[66:67]
	s_delay_alu instid0(VALU_DEP_1) | instskip(SKIP_1) | instid1(VALU_DEP_1)
	v_fma_f64 v[60:61], v[62:63], v[64:65], v[60:61]
	v_mul_f64_e32 v[62:63], v[62:63], v[66:67]
	v_fma_f64 v[168:169], v[156:157], v[64:65], -v[62:63]
	v_mul_f64_e32 v[62:63], v[150:151], v[70:71]
	s_delay_alu instid0(VALU_DEP_1) | instskip(SKIP_1) | instid1(VALU_DEP_1)
	v_fma_f64 v[156:157], v[54:55], v[68:69], v[62:63]
	v_mul_f64_e32 v[54:55], v[54:55], v[70:71]
	v_fma_f64 v[85:86], v[150:151], v[68:69], -v[54:55]
	s_wait_loadcnt 0x0
	v_mul_f64_e32 v[54:55], v[152:153], v[79:80]
	s_delay_alu instid0(VALU_DEP_1) | instskip(SKIP_1) | instid1(VALU_DEP_1)
	v_fma_f64 v[54:55], v[56:57], v[77:78], v[54:55]
	v_mul_f64_e32 v[56:57], v[56:57], v[79:80]
	v_fma_f64 v[56:57], v[152:153], v[77:78], -v[56:57]
	v_dual_mov_b32 v152, v212 :: v_dual_mov_b32 v153, v213
	s_clause 0x1
	global_load_b128 v[62:65], v76, s[4:5] offset:192
	global_load_b128 v[66:69], v76, s[4:5] offset:208
	s_wait_loadcnt 0x1
	v_mul_f64_e32 v[70:71], v[146:147], v[64:65]
	s_delay_alu instid0(VALU_DEP_1) | instskip(SKIP_1) | instid1(VALU_DEP_1)
	v_fma_f64 v[150:151], v[48:49], v[62:63], v[70:71]
	v_mul_f64_e32 v[48:49], v[48:49], v[64:65]
	v_fma_f64 v[87:88], v[146:147], v[62:63], -v[48:49]
	s_clause 0x1
	global_load_b128 v[62:65], v230, s[4:5] offset:192
	global_load_b128 v[77:80], v230, s[4:5] offset:208
	v_dual_mov_b32 v146, v214 :: v_dual_mov_b32 v147, v215
	s_wait_loadcnt 0x1
	v_mul_f64_e32 v[48:49], v[148:149], v[64:65]
	s_delay_alu instid0(VALU_DEP_1) | instskip(SKIP_1) | instid1(VALU_DEP_1)
	v_fma_f64 v[48:49], v[50:51], v[62:63], v[48:49]
	v_mul_f64_e32 v[50:51], v[50:51], v[64:65]
	v_fma_f64 v[50:51], v[148:149], v[62:63], -v[50:51]
	v_mul_f64_e32 v[62:63], v[142:143], v[68:69]
	s_delay_alu instid0(VALU_DEP_1) | instskip(SKIP_1) | instid1(VALU_DEP_1)
	v_fma_f64 v[148:149], v[44:45], v[66:67], v[62:63]
	v_mul_f64_e32 v[44:45], v[44:45], v[68:69]
	v_fma_f64 v[142:143], v[142:143], v[66:67], -v[44:45]
	s_clause 0x1
	global_load_b128 v[62:65], v76, s[4:5] offset:224
	global_load_b128 v[66:69], v76, s[4:5] offset:240
	s_wait_loadcnt 0x2
	v_mul_f64_e32 v[44:45], v[144:145], v[79:80]
	s_delay_alu instid0(VALU_DEP_1) | instskip(SKIP_1) | instid1(VALU_DEP_1)
	v_fma_f64 v[44:45], v[46:47], v[77:78], v[44:45]
	v_mul_f64_e32 v[46:47], v[46:47], v[79:80]
	v_fma_f64 v[46:47], v[144:145], v[77:78], -v[46:47]
	s_wait_loadcnt 0x1
	v_mul_f64_e32 v[70:71], v[138:139], v[64:65]
	s_delay_alu instid0(VALU_DEP_1) | instskip(SKIP_1) | instid1(VALU_DEP_1)
	v_fma_f64 v[144:145], v[40:41], v[62:63], v[70:71]
	v_mul_f64_e32 v[40:41], v[40:41], v[64:65]
	v_fma_f64 v[138:139], v[138:139], v[62:63], -v[40:41]
	s_clause 0x1
	global_load_b128 v[62:65], v230, s[4:5] offset:224
	global_load_b128 v[76:79], v230, s[4:5] offset:240
	v_add_f64_e64 v[230:231], v[100:101], -v[81:82]
	s_wait_loadcnt 0x1
	v_mul_f64_e32 v[40:41], v[140:141], v[64:65]
	s_delay_alu instid0(VALU_DEP_1) | instskip(SKIP_1) | instid1(VALU_DEP_1)
	v_fma_f64 v[162:163], v[42:43], v[62:63], v[40:41]
	v_mul_f64_e32 v[42:43], v[42:43], v[64:65]
	v_fma_f64 v[42:43], v[140:141], v[62:63], -v[42:43]
	v_mul_f64_e32 v[62:63], v[134:135], v[68:69]
	s_delay_alu instid0(VALU_DEP_1) | instskip(SKIP_2) | instid1(VALU_DEP_1)
	v_fma_f64 v[140:141], v[36:37], v[66:67], v[62:63]
	v_mul_f64_e32 v[36:37], v[36:37], v[68:69]
	v_and_b32_e32 v62, 0xff, v236
	v_mul_lo_u16 v62, v62, 37
	s_delay_alu instid0(VALU_DEP_1) | instskip(NEXT) | instid1(VALU_DEP_1)
	v_lshrrev_b16 v62, 8, v62
	v_sub_nc_u16 v63, v236, v62
	s_delay_alu instid0(VALU_DEP_1) | instskip(NEXT) | instid1(VALU_DEP_1)
	v_lshrrev_b16 v63, 1, v63
	v_and_b32_e32 v63, 0x7f, v63
	s_delay_alu instid0(VALU_DEP_1) | instskip(NEXT) | instid1(VALU_DEP_1)
	v_add_nc_u16 v62, v63, v62
	v_lshrrev_b16 v62, 2, v62
	v_fma_f64 v[134:135], v[134:135], v[66:67], -v[36:37]
	s_wait_loadcnt 0x0
	v_mul_f64_e32 v[36:37], v[136:137], v[78:79]
	s_delay_alu instid0(VALU_DEP_3) | instskip(NEXT) | instid1(VALU_DEP_1)
	v_mul_lo_u16 v62, v62, 7
	v_sub_nc_u16 v62, v236, v62
	s_delay_alu instid0(VALU_DEP_3) | instskip(SKIP_2) | instid1(VALU_DEP_2)
	v_fma_f64 v[154:155], v[38:39], v[76:77], v[36:37]
	v_mul_f64_e32 v[38:39], v[38:39], v[78:79]
	v_lshlrev_b32_e32 v59, 3, v59
	v_fma_f64 v[36:37], v[136:137], v[76:77], -v[38:39]
	v_and_b32_e32 v38, 0xff, v62
	v_add_f64_e32 v[136:137], v[242:243], v[244:245]
	v_dual_mov_b32 v39, v196 :: v_dual_mov_b32 v40, v197
	s_delay_alu instid0(VALU_DEP_3)
	v_lshlrev_b32_e32 v80, 8, v38
	s_clause 0x1
	global_load_b128 v[62:65], v80, s[4:5] offset:16
	global_load_b128 v[66:69], v80, s[4:5]
	s_wait_loadcnt 0x1
	v_mul_f64_e32 v[70:71], v[130:131], v[64:65]
	s_delay_alu instid0(VALU_DEP_1) | instskip(SKIP_1) | instid1(VALU_DEP_1)
	v_fma_f64 v[70:71], v[32:33], v[62:63], v[70:71]
	v_mul_f64_e32 v[32:33], v[32:33], v[64:65]
	v_fma_f64 v[32:33], v[130:131], v[62:63], -v[32:33]
	s_clause 0x1
	scratch_store_b64 off, v[70:71], off offset:184
	scratch_store_b64 off, v[32:33], off offset:168
	s_clause 0x1
	global_load_b128 v[62:65], v80, s[4:5] offset:32
	global_load_b128 v[76:79], v80, s[4:5] offset:48
	s_wait_loadcnt 0x1
	v_mul_f64_e32 v[32:33], v[132:133], v[64:65]
	s_delay_alu instid0(VALU_DEP_1) | instskip(SKIP_2) | instid1(VALU_DEP_1)
	v_fma_f64 v[32:33], v[34:35], v[62:63], v[32:33]
	scratch_store_b64 off, v[32:33], off offset:192 ; 8-byte Folded Spill
	v_mul_f64_e32 v[32:33], v[34:35], v[64:65]
	v_fma_f64 v[32:33], v[132:133], v[62:63], -v[32:33]
	scratch_store_b64 off, v[32:33], off offset:152 ; 8-byte Folded Spill
	s_wait_loadcnt 0x0
	v_mul_f64_e32 v[32:33], v[126:127], v[78:79]
	s_delay_alu instid0(VALU_DEP_1) | instskip(SKIP_1) | instid1(VALU_DEP_1)
	v_fma_f64 v[32:33], v[28:29], v[76:77], v[32:33]
	v_mul_f64_e32 v[28:29], v[28:29], v[78:79]
	v_fma_f64 v[28:29], v[126:127], v[76:77], -v[28:29]
	scratch_store_b64 off, v[32:33], off offset:200 ; 8-byte Folded Spill
	v_add_f64_e32 v[126:127], v[106:107], v[156:157]
	scratch_store_b64 off, v[28:29], off offset:128 ; 8-byte Folded Spill
	s_clause 0x1
	global_load_b128 v[32:35], v80, s[4:5] offset:64
	global_load_b128 v[62:65], v80, s[4:5] offset:80
	s_wait_loadcnt 0x1
	v_mul_f64_e32 v[28:29], v[128:129], v[34:35]
	s_delay_alu instid0(VALU_DEP_1) | instskip(SKIP_2) | instid1(VALU_DEP_1)
	v_fma_f64 v[28:29], v[30:31], v[32:33], v[28:29]
	scratch_store_b64 off, v[28:29], off offset:208 ; 8-byte Folded Spill
	v_mul_f64_e32 v[28:29], v[30:31], v[34:35]
	v_fma_f64 v[28:29], v[128:129], v[32:33], -v[28:29]
	v_add_f64_e64 v[128:129], v[108:109], -v[85:86]
	scratch_store_b64 off, v[28:29], off offset:104 ; 8-byte Folded Spill
	s_wait_loadcnt 0x0
	v_mul_f64_e32 v[28:29], v[122:123], v[64:65]
	v_mul_f64_e32 v[130:131], s[42:43], v[128:129]
	;; [unrolled: 1-line block ×3, first 2 shown]
	s_delay_alu instid0(VALU_DEP_3) | instskip(SKIP_1) | instid1(VALU_DEP_1)
	v_fma_f64 v[28:29], v[24:25], v[62:63], v[28:29]
	v_mul_f64_e32 v[24:25], v[24:25], v[64:65]
	v_fma_f64 v[24:25], v[122:123], v[62:63], -v[24:25]
	s_clause 0x1
	scratch_store_b64 off, v[28:29], off offset:216
	scratch_store_b64 off, v[24:25], off offset:112
	s_clause 0x1
	global_load_b128 v[28:31], v80, s[4:5] offset:96
	global_load_b128 v[32:35], v80, s[4:5] offset:112
	s_wait_loadcnt 0x1
	v_mul_f64_e32 v[24:25], v[124:125], v[30:31]
	s_delay_alu instid0(VALU_DEP_1) | instskip(SKIP_2) | instid1(VALU_DEP_1)
	v_fma_f64 v[24:25], v[26:27], v[28:29], v[24:25]
	scratch_store_b64 off, v[24:25], off offset:224 ; 8-byte Folded Spill
	v_mul_f64_e32 v[24:25], v[26:27], v[30:31]
	v_fma_f64 v[24:25], v[124:125], v[28:29], -v[24:25]
	scratch_store_b64 off, v[24:25], off offset:136 ; 8-byte Folded Spill
	s_wait_loadcnt 0x0
	v_mul_f64_e32 v[24:25], v[118:119], v[34:35]
	s_delay_alu instid0(VALU_DEP_1) | instskip(SKIP_1) | instid1(VALU_DEP_1)
	v_fma_f64 v[24:25], v[20:21], v[32:33], v[24:25]
	v_mul_f64_e32 v[20:21], v[20:21], v[34:35]
	v_fma_f64 v[20:21], v[118:119], v[32:33], -v[20:21]
	s_clause 0x1
	scratch_store_b64 off, v[24:25], off offset:232
	scratch_store_b64 off, v[20:21], off offset:160
	s_clause 0x1
	global_load_b128 v[24:27], v80, s[4:5] offset:128
	global_load_b128 v[28:31], v80, s[4:5] offset:144
	s_wait_loadcnt 0x1
	v_mul_f64_e32 v[20:21], v[120:121], v[26:27]
	s_delay_alu instid0(VALU_DEP_1) | instskip(SKIP_2) | instid1(VALU_DEP_1)
	v_fma_f64 v[20:21], v[22:23], v[24:25], v[20:21]
	scratch_store_b64 off, v[20:21], off offset:240 ; 8-byte Folded Spill
	v_mul_f64_e32 v[20:21], v[22:23], v[26:27]
	v_fma_f64 v[20:21], v[120:121], v[24:25], -v[20:21]
	scratch_store_b64 off, v[20:21], off offset:176 ; 8-byte Folded Spill
	s_wait_loadcnt 0x0
	v_mul_f64_e32 v[20:21], v[114:115], v[30:31]
	s_delay_alu instid0(VALU_DEP_1) | instskip(SKIP_1) | instid1(VALU_DEP_1)
	;; [unrolled: 20-line block ×4, first 2 shown]
	v_fma_f64 v[12:13], v[8:9], v[20:21], v[12:13]
	v_mul_f64_e32 v[8:9], v[8:9], v[22:23]
	v_fma_f64 v[8:9], v[72:73], v[20:21], -v[8:9]
	s_clause 0x1
	scratch_store_b64 off, v[12:13], off offset:280
	scratch_store_b64 off, v[8:9], off offset:80
	s_clause 0x1
	global_load_b128 v[12:15], v80, s[4:5] offset:224
	global_load_b128 v[16:19], v80, s[4:5] offset:240
	s_clause 0x2
	scratch_store_b64 off, v[252:253], off offset:600
	scratch_store_b64 off, v[190:191], off offset:592
	;; [unrolled: 1-line block ×3, first 2 shown]
	s_wait_loadcnt 0x1
	v_mul_f64_e32 v[8:9], v[74:75], v[14:15]
	s_delay_alu instid0(VALU_DEP_1) | instskip(SKIP_2) | instid1(VALU_DEP_1)
	v_fma_f64 v[8:9], v[10:11], v[12:13], v[8:9]
	scratch_store_b64 off, v[8:9], off offset:288 ; 8-byte Folded Spill
	v_mul_f64_e32 v[8:9], v[10:11], v[14:15]
	v_fma_f64 v[8:9], v[74:75], v[12:13], -v[8:9]
	v_add_f64_e64 v[12:13], v[190:191], -v[138:139]
	scratch_store_b64 off, v[8:9], off offset:72 ; 8-byte Folded Spill
	s_wait_loadcnt 0x0
	v_mul_f64_e32 v[8:9], v[250:251], v[18:19]
	v_mul_f64_e32 v[14:15], s[12:13], v[12:13]
	s_delay_alu instid0(VALU_DEP_2) | instskip(SKIP_3) | instid1(VALU_DEP_2)
	v_fma_f64 v[8:9], v[248:249], v[16:17], v[8:9]
	scratch_store_b64 off, v[8:9], off offset:304 ; 8-byte Folded Spill
	v_mul_f64_e32 v[8:9], v[248:249], v[18:19]
	v_add_f64_e64 v[248:249], v[104:105], -v[83:84]
	v_fma_f64 v[8:9], v[250:251], v[16:17], -v[8:9]
	s_delay_alu instid0(VALU_DEP_2) | instskip(SKIP_2) | instid1(VALU_DEP_1)
	v_mul_f64_e32 v[250:251], s[34:35], v[248:249]
	scratch_store_b64 off, v[8:9], off offset:64 ; 8-byte Folded Spill
	v_mul_f64_e32 v[8:9], v[2:3], v[68:69]
	v_fma_f64 v[8:9], v[6:7], v[66:67], v[8:9]
	v_mul_f64_e32 v[6:7], v[6:7], v[68:69]
	s_delay_alu instid0(VALU_DEP_1)
	v_fma_f64 v[2:3], v[2:3], v[66:67], -v[6:7]
	v_add_f64_e64 v[6:7], v[252:253], -v[134:135]
	scratch_store_b64 off, v[8:9], off offset:312 ; 8-byte Folded Spill
	v_mul_f64_e32 v[252:253], s[48:49], v[248:249]
	scratch_store_b64 off, v[2:3], off offset:296 ; 8-byte Folded Spill
	v_add_f64_e32 v[2:3], v[214:215], v[140:141]
	v_mul_f64_e32 v[8:9], s[2:3], v[6:7]
	s_clause 0x9
	scratch_store_b64 off, v[182:183], off offset:560
	scratch_store_b64 off, v[87:88], off offset:608
	;; [unrolled: 1-line block ×10, first 2 shown]
	scratch_load_b32 v97, off, off offset:60 ; 4-byte Folded Reload
	global_wb scope:SCOPE_SE
	s_wait_loadcnt 0x0
	s_wait_storecnt 0x0
	s_barrier_signal -1
	s_barrier_wait -1
	global_inv scope:SCOPE_SE
	v_mul_f64_e32 v[84:85], s[42:43], v[12:13]
	s_clause 0x7
	scratch_store_b64 off, v[106:107], off offset:568
	scratch_store_b64 off, v[242:243], off offset:536
	;; [unrolled: 1-line block ×8, first 2 shown]
	v_fma_f64 v[10:11], v[2:3], s[6:7], v[8:9]
	v_fma_f64 v[8:9], v[2:3], s[6:7], -v[8:9]
	s_delay_alu instid0(VALU_DEP_2) | instskip(SKIP_1) | instid1(VALU_DEP_3)
	v_add_f64_e32 v[16:17], v[246:247], v[10:11]
	v_add_f64_e32 v[10:11], v[212:213], v[144:145]
	;; [unrolled: 1-line block ×3, first 2 shown]
	s_delay_alu instid0(VALU_DEP_2) | instskip(SKIP_2) | instid1(VALU_DEP_3)
	v_fma_f64 v[18:19], v[10:11], s[14:15], v[14:15]
	v_fma_f64 v[100:101], v[10:11], s[40:41], v[84:85]
	v_fma_f64 v[14:15], v[10:11], s[14:15], -v[14:15]
	v_add_f64_e32 v[26:27], v[18:19], v[16:17]
	v_mul_f64_e32 v[16:17], s[16:17], v[6:7]
	s_delay_alu instid0(VALU_DEP_3) | instskip(NEXT) | instid1(VALU_DEP_2)
	v_add_f64_e32 v[8:9], v[14:15], v[8:9]
	v_fma_f64 v[18:19], v[2:3], s[18:19], v[16:17]
	v_fma_f64 v[14:15], v[2:3], s[18:19], -v[16:17]
	s_delay_alu instid0(VALU_DEP_2) | instskip(SKIP_1) | instid1(VALU_DEP_3)
	v_add_f64_e32 v[20:21], v[246:247], v[18:19]
	v_mul_f64_e32 v[18:19], s[20:21], v[12:13]
	v_add_f64_e32 v[14:15], v[246:247], v[14:15]
	s_delay_alu instid0(VALU_DEP_2) | instskip(SKIP_1) | instid1(VALU_DEP_2)
	v_fma_f64 v[22:23], v[10:11], s[22:23], v[18:19]
	v_fma_f64 v[16:17], v[10:11], s[22:23], -v[18:19]
	v_add_f64_e32 v[28:29], v[22:23], v[20:21]
	v_add_f64_e64 v[22:23], v[186:187], -v[142:143]
	v_add_f64_e32 v[20:21], v[210:211], v[148:149]
	s_delay_alu instid0(VALU_DEP_4) | instskip(NEXT) | instid1(VALU_DEP_3)
	v_add_f64_e32 v[14:15], v[16:17], v[14:15]
	v_mul_f64_e32 v[24:25], s[20:21], v[22:23]
	s_delay_alu instid0(VALU_DEP_1) | instskip(SKIP_1) | instid1(VALU_DEP_2)
	v_fma_f64 v[30:31], v[20:21], s[22:23], v[24:25]
	v_fma_f64 v[16:17], v[20:21], s[22:23], -v[24:25]
	v_add_f64_e32 v[34:35], v[30:31], v[26:27]
	s_wait_alu 0xfffe
	v_mul_f64_e32 v[26:27], s[26:27], v[22:23]
	s_delay_alu instid0(VALU_DEP_3) | instskip(NEXT) | instid1(VALU_DEP_2)
	v_add_f64_e32 v[8:9], v[16:17], v[8:9]
	v_fma_f64 v[30:31], v[20:21], s[28:29], v[26:27]
	v_fma_f64 v[16:17], v[20:21], s[28:29], -v[26:27]
	s_delay_alu instid0(VALU_DEP_2) | instskip(SKIP_2) | instid1(VALU_DEP_4)
	v_add_f64_e32 v[62:63], v[30:31], v[28:29]
	v_add_f64_e64 v[30:31], v[182:183], -v[87:88]
	v_add_f64_e32 v[28:29], v[196:197], v[150:151]
	v_add_f64_e32 v[14:15], v[16:17], v[14:15]
	s_delay_alu instid0(VALU_DEP_3) | instskip(NEXT) | instid1(VALU_DEP_1)
	v_mul_f64_e32 v[32:33], s[24:25], v[30:31]
	v_fma_f64 v[64:65], v[28:29], s[28:29], v[32:33]
	v_fma_f64 v[16:17], v[28:29], s[28:29], -v[32:33]
	s_delay_alu instid0(VALU_DEP_2) | instskip(SKIP_1) | instid1(VALU_DEP_3)
	v_add_f64_e32 v[64:65], v[64:65], v[34:35]
	v_mul_f64_e32 v[34:35], s[34:35], v[30:31]
	v_add_f64_e32 v[8:9], v[16:17], v[8:9]
	s_delay_alu instid0(VALU_DEP_2) | instskip(SKIP_1) | instid1(VALU_DEP_2)
	v_fma_f64 v[66:67], v[28:29], s[36:37], v[34:35]
	v_fma_f64 v[16:17], v[28:29], s[36:37], -v[34:35]
	v_add_f64_e32 v[62:63], v[66:67], v[62:63]
	v_fma_f64 v[66:67], v[126:127], s[40:41], v[130:131]
	s_delay_alu instid0(VALU_DEP_3) | instskip(SKIP_1) | instid1(VALU_DEP_3)
	v_add_f64_e32 v[14:15], v[16:17], v[14:15]
	v_fma_f64 v[16:17], v[126:127], s[40:41], -v[130:131]
	v_add_f64_e32 v[64:65], v[66:67], v[64:65]
	v_fma_f64 v[66:67], v[126:127], s[6:7], v[132:133]
	s_delay_alu instid0(VALU_DEP_3) | instskip(SKIP_1) | instid1(VALU_DEP_3)
	v_add_f64_e32 v[8:9], v[16:17], v[8:9]
	;; [unrolled: 5-line block ×4, first 2 shown]
	v_fma_f64 v[16:17], v[136:137], s[50:51], -v[252:253]
	v_add_f64_e32 v[66:67], v[66:67], v[62:63]
	v_mul_f64_e32 v[62:63], s[46:47], v[230:231]
	s_delay_alu instid0(VALU_DEP_3) | instskip(NEXT) | instid1(VALU_DEP_2)
	v_add_f64_e32 v[14:15], v[16:17], v[14:15]
	v_fma_f64 v[68:69], v[254:255], s[18:19], v[62:63]
	v_fma_f64 v[16:17], v[254:255], s[18:19], -v[62:63]
	v_add_f64_e64 v[62:63], v[228:229], -v[36:37]
	scratch_load_b64 v[228:229], off, off offset:616 ; 8-byte Folded Reload
	v_add_f64_e32 v[76:77], v[68:69], v[64:65]
	v_mul_f64_e32 v[64:65], s[12:13], v[230:231]
	v_add_f64_e32 v[8:9], v[16:17], v[8:9]
	s_delay_alu instid0(VALU_DEP_2) | instskip(SKIP_1) | instid1(VALU_DEP_2)
	v_fma_f64 v[68:69], v[254:255], s[14:15], v[64:65]
	v_fma_f64 v[16:17], v[254:255], s[14:15], -v[64:65]
	v_add_f64_e32 v[80:81], v[68:69], v[66:67]
	v_add_f64_e64 v[68:69], v[91:92], -v[93:94]
	v_add_f64_e32 v[66:67], v[102:103], v[240:241]
	v_mul_f64_e32 v[91:92], s[46:47], v[12:13]
	v_add_f64_e32 v[14:15], v[16:17], v[14:15]
	s_delay_alu instid0(VALU_DEP_4) | instskip(NEXT) | instid1(VALU_DEP_3)
	v_mul_f64_e32 v[70:71], s[52:53], v[68:69]
	v_fma_f64 v[166:167], v[10:11], s[18:19], v[91:92]
	v_fma_f64 v[91:92], v[10:11], s[18:19], -v[91:92]
	s_delay_alu instid0(VALU_DEP_3) | instskip(SKIP_1) | instid1(VALU_DEP_2)
	v_fma_f64 v[78:79], v[66:67], s[50:51], v[70:71]
	v_fma_f64 v[16:17], v[66:67], s[50:51], -v[70:71]
	v_add_f64_e32 v[78:79], v[78:79], v[76:77]
	v_mul_f64_e32 v[76:77], s[38:39], v[68:69]
	s_delay_alu instid0(VALU_DEP_3) | instskip(NEXT) | instid1(VALU_DEP_2)
	v_add_f64_e32 v[8:9], v[16:17], v[8:9]
	v_fma_f64 v[86:87], v[66:67], s[40:41], v[76:77]
	v_fma_f64 v[16:17], v[66:67], s[40:41], -v[76:77]
	v_add_f64_e64 v[76:77], v[202:203], -v[168:169]
	s_delay_alu instid0(VALU_DEP_3)
	v_add_f64_e32 v[80:81], v[86:87], v[80:81]
	v_add3_u32 v86, v58, v59, v97
	v_mul_f64_e32 v[58:59], s[12:13], v[6:7]
	v_add_f64_e32 v[14:15], v[16:17], v[14:15]
	ds_store_2addr_b64 v86, v[78:79], v[80:81] offset0:14 offset1:21
	v_mul_f64_e32 v[80:81], s[24:25], v[12:13]
	v_fma_f64 v[78:79], v[2:3], s[14:15], v[58:59]
	ds_store_2addr_b64 v86, v[14:15], v[8:9] offset0:98 offset1:105
	v_mul_f64_e32 v[8:9], s[2:3], v[12:13]
	v_fma_f64 v[58:59], v[2:3], s[14:15], -v[58:59]
	v_fma_f64 v[93:94], v[10:11], s[28:29], v[80:81]
	v_add_f64_e32 v[78:79], v[246:247], v[78:79]
	s_delay_alu instid0(VALU_DEP_4) | instskip(NEXT) | instid1(VALU_DEP_4)
	v_fma_f64 v[14:15], v[10:11], s[6:7], v[8:9]
	v_add_f64_e32 v[58:59], v[246:247], v[58:59]
	s_delay_alu instid0(VALU_DEP_3) | instskip(SKIP_1) | instid1(VALU_DEP_1)
	v_add_f64_e32 v[78:79], v[93:94], v[78:79]
	v_mul_f64_e32 v[93:94], s[30:31], v[6:7]
	v_fma_f64 v[95:96], v[2:3], s[36:37], v[93:94]
	s_delay_alu instid0(VALU_DEP_1) | instskip(NEXT) | instid1(VALU_DEP_1)
	v_add_f64_e32 v[95:96], v[246:247], v[95:96]
	v_add_f64_e32 v[95:96], v[100:101], v[95:96]
	v_mul_f64_e32 v[100:101], s[34:35], v[22:23]
	s_delay_alu instid0(VALU_DEP_1) | instskip(NEXT) | instid1(VALU_DEP_1)
	v_fma_f64 v[82:83], v[20:21], s[36:37], v[100:101]
	v_add_f64_e32 v[78:79], v[82:83], v[78:79]
	v_mul_f64_e32 v[82:83], s[44:45], v[22:23]
	s_delay_alu instid0(VALU_DEP_1) | instskip(NEXT) | instid1(VALU_DEP_1)
	v_fma_f64 v[104:105], v[20:21], s[6:7], v[82:83]
	;; [unrolled: 4-line block ×12, first 2 shown]
	v_add_f64_e32 v[74:75], v[74:75], v[95:96]
	v_mul_f64_e32 v[95:96], s[34:35], v[12:13]
	ds_store_2addr_b64 v86, v[72:73], v[74:75] offset0:28 offset1:35
	v_mul_f64_e32 v[72:73], s[20:21], v[6:7]
	v_fma_f64 v[122:123], v[10:11], s[36:37], v[95:96]
	s_delay_alu instid0(VALU_DEP_2) | instskip(SKIP_1) | instid1(VALU_DEP_2)
	v_fma_f64 v[74:75], v[2:3], s[22:23], v[72:73]
	v_fma_f64 v[72:73], v[2:3], s[22:23], -v[72:73]
	v_add_f64_e32 v[74:75], v[246:247], v[74:75]
	s_delay_alu instid0(VALU_DEP_2) | instskip(NEXT) | instid1(VALU_DEP_2)
	v_add_f64_e32 v[72:73], v[246:247], v[72:73]
	v_add_f64_e32 v[74:75], v[122:123], v[74:75]
	v_mul_f64_e32 v[122:123], s[38:39], v[6:7]
	s_delay_alu instid0(VALU_DEP_1) | instskip(NEXT) | instid1(VALU_DEP_1)
	v_fma_f64 v[124:125], v[2:3], s[40:41], v[122:123]
	v_add_f64_e32 v[124:125], v[246:247], v[124:125]
	s_delay_alu instid0(VALU_DEP_1) | instskip(SKIP_1) | instid1(VALU_DEP_1)
	v_add_f64_e32 v[124:125], v[166:167], v[124:125]
	v_mul_f64_e32 v[166:167], s[48:49], v[22:23]
	v_fma_f64 v[182:183], v[20:21], s[50:51], v[166:167]
	s_delay_alu instid0(VALU_DEP_1) | instskip(SKIP_1) | instid1(VALU_DEP_1)
	v_add_f64_e32 v[74:75], v[182:183], v[74:75]
	v_mul_f64_e32 v[182:183], s[12:13], v[22:23]
	v_fma_f64 v[184:185], v[20:21], s[14:15], v[182:183]
	;; [unrolled: 4-line block ×12, first 2 shown]
	s_delay_alu instid0(VALU_DEP_1)
	v_add_f64_e32 v[124:125], v[180:181], v[124:125]
	v_mul_f64_e32 v[180:181], s[52:53], v[12:13]
	ds_store_2addr_b64 v86, v[74:75], v[124:125] offset0:42 offset1:49
	v_mul_f64_e32 v[74:75], s[24:25], v[6:7]
	v_fma_f64 v[194:195], v[10:11], s[50:51], v[180:181]
	v_fma_f64 v[180:181], v[10:11], s[50:51], -v[180:181]
	v_mul_f64_e32 v[6:7], s[48:49], v[6:7]
	s_delay_alu instid0(VALU_DEP_4) | instskip(SKIP_1) | instid1(VALU_DEP_3)
	v_fma_f64 v[124:125], v[2:3], s[28:29], v[74:75]
	v_fma_f64 v[74:75], v[2:3], s[28:29], -v[74:75]
	v_fma_f64 v[12:13], v[2:3], s[50:51], v[6:7]
	s_delay_alu instid0(VALU_DEP_3) | instskip(NEXT) | instid1(VALU_DEP_3)
	v_add_f64_e32 v[124:125], v[246:247], v[124:125]
	v_add_f64_e32 v[74:75], v[246:247], v[74:75]
	s_delay_alu instid0(VALU_DEP_3) | instskip(NEXT) | instid1(VALU_DEP_3)
	v_add_f64_e32 v[12:13], v[246:247], v[12:13]
	v_add_f64_e32 v[124:125], v[194:195], v[124:125]
	s_delay_alu instid0(VALU_DEP_3) | instskip(SKIP_1) | instid1(VALU_DEP_4)
	v_add_f64_e32 v[74:75], v[180:181], v[74:75]
	v_mul_f64_e32 v[180:181], s[38:39], v[22:23]
	v_add_f64_e32 v[12:13], v[14:15], v[12:13]
	v_mul_f64_e32 v[14:15], s[16:17], v[22:23]
	s_delay_alu instid0(VALU_DEP_3) | instskip(SKIP_1) | instid1(VALU_DEP_3)
	v_fma_f64 v[194:195], v[20:21], s[40:41], v[180:181]
	v_fma_f64 v[180:181], v[20:21], s[40:41], -v[180:181]
	v_fma_f64 v[16:17], v[20:21], s[18:19], v[14:15]
	s_delay_alu instid0(VALU_DEP_3) | instskip(NEXT) | instid1(VALU_DEP_3)
	v_add_f64_e32 v[124:125], v[194:195], v[124:125]
	v_add_f64_e32 v[74:75], v[180:181], v[74:75]
	v_mul_f64_e32 v[180:181], s[44:45], v[30:31]
	s_delay_alu instid0(VALU_DEP_4) | instskip(SKIP_1) | instid1(VALU_DEP_3)
	v_add_f64_e32 v[12:13], v[16:17], v[12:13]
	v_mul_f64_e32 v[16:17], s[12:13], v[30:31]
	v_fma_f64 v[194:195], v[28:29], s[6:7], v[180:181]
	v_fma_f64 v[180:181], v[28:29], s[6:7], -v[180:181]
	s_delay_alu instid0(VALU_DEP_3) | instskip(SKIP_1) | instid1(VALU_DEP_4)
	v_fma_f64 v[18:19], v[28:29], s[14:15], v[16:17]
	v_fma_f64 v[16:17], v[28:29], s[14:15], -v[16:17]
	v_add_f64_e32 v[124:125], v[194:195], v[124:125]
	s_delay_alu instid0(VALU_DEP_4) | instskip(SKIP_3) | instid1(VALU_DEP_3)
	v_add_f64_e32 v[74:75], v[180:181], v[74:75]
	v_mul_f64_e32 v[180:181], s[20:21], v[128:129]
	v_add_f64_e32 v[12:13], v[18:19], v[12:13]
	v_mul_f64_e32 v[18:19], s[30:31], v[128:129]
	v_fma_f64 v[194:195], v[126:127], s[22:23], v[180:181]
	v_fma_f64 v[180:181], v[126:127], s[22:23], -v[180:181]
	s_delay_alu instid0(VALU_DEP_3) | instskip(NEXT) | instid1(VALU_DEP_3)
	v_fma_f64 v[22:23], v[126:127], s[36:37], v[18:19]
	v_add_f64_e32 v[124:125], v[194:195], v[124:125]
	s_delay_alu instid0(VALU_DEP_3) | instskip(SKIP_1) | instid1(VALU_DEP_4)
	v_add_f64_e32 v[74:75], v[180:181], v[74:75]
	v_mul_f64_e32 v[180:181], s[46:47], v[248:249]
	v_add_f64_e32 v[12:13], v[22:23], v[12:13]
	v_mul_f64_e32 v[22:23], s[20:21], v[248:249]
	s_delay_alu instid0(VALU_DEP_3) | instskip(SKIP_1) | instid1(VALU_DEP_3)
	v_fma_f64 v[194:195], v[136:137], s[18:19], v[180:181]
	v_fma_f64 v[180:181], v[136:137], s[18:19], -v[180:181]
	v_fma_f64 v[24:25], v[136:137], s[22:23], v[22:23]
	s_delay_alu instid0(VALU_DEP_3) | instskip(NEXT) | instid1(VALU_DEP_3)
	v_add_f64_e32 v[124:125], v[194:195], v[124:125]
	v_add_f64_e32 v[74:75], v[180:181], v[74:75]
	v_mul_f64_e32 v[180:181], s[30:31], v[230:231]
	s_delay_alu instid0(VALU_DEP_4) | instskip(SKIP_1) | instid1(VALU_DEP_3)
	v_add_f64_e32 v[12:13], v[24:25], v[12:13]
	v_mul_f64_e32 v[24:25], s[38:39], v[230:231]
	v_fma_f64 v[194:195], v[254:255], s[36:37], v[180:181]
	v_fma_f64 v[180:181], v[254:255], s[36:37], -v[180:181]
	s_delay_alu instid0(VALU_DEP_3) | instskip(NEXT) | instid1(VALU_DEP_3)
	v_fma_f64 v[26:27], v[254:255], s[40:41], v[24:25]
	v_add_f64_e32 v[124:125], v[194:195], v[124:125]
	s_delay_alu instid0(VALU_DEP_3) | instskip(SKIP_1) | instid1(VALU_DEP_4)
	v_add_f64_e32 v[74:75], v[180:181], v[74:75]
	v_mul_f64_e32 v[180:181], s[54:55], v[68:69]
	v_add_f64_e32 v[12:13], v[26:27], v[12:13]
	v_mul_f64_e32 v[26:27], s[24:25], v[68:69]
	v_add_f64_e64 v[68:69], v[208:209], -v[56:57]
	s_delay_alu instid0(VALU_DEP_4) | instskip(SKIP_1) | instid1(VALU_DEP_4)
	v_fma_f64 v[194:195], v[66:67], s[14:15], v[180:181]
	v_fma_f64 v[180:181], v[66:67], s[14:15], -v[180:181]
	v_fma_f64 v[30:31], v[66:67], s[28:29], v[26:27]
	v_fma_f64 v[32:33], v[66:67], s[28:29], -v[26:27]
	s_delay_alu instid0(VALU_DEP_4) | instskip(NEXT) | instid1(VALU_DEP_4)
	v_add_f64_e32 v[124:125], v[194:195], v[124:125]
	v_add_f64_e32 v[74:75], v[180:181], v[74:75]
	s_delay_alu instid0(VALU_DEP_4)
	v_add_f64_e32 v[12:13], v[30:31], v[12:13]
	v_add_f64_e32 v[30:31], v[246:247], v[214:215]
	ds_store_2addr_b64 v86, v[124:125], v[74:75] offset0:56 offset1:63
	v_fma_f64 v[74:75], v[10:11], s[36:37], -v[95:96]
	v_add_f64_e32 v[30:31], v[30:31], v[212:213]
	v_dual_mov_b32 v213, v211 :: v_dual_mov_b32 v212, v210
	s_delay_alu instid0(VALU_DEP_3) | instskip(SKIP_1) | instid1(VALU_DEP_4)
	v_add_f64_e32 v[72:73], v[74:75], v[72:73]
	v_fma_f64 v[74:75], v[2:3], s[40:41], -v[122:123]
	v_add_f64_e32 v[30:31], v[30:31], v[210:211]
	s_delay_alu instid0(VALU_DEP_2) | instskip(NEXT) | instid1(VALU_DEP_2)
	v_add_f64_e32 v[74:75], v[246:247], v[74:75]
	v_add_f64_e32 v[30:31], v[30:31], v[196:197]
	s_delay_alu instid0(VALU_DEP_2) | instskip(SKIP_1) | instid1(VALU_DEP_3)
	v_add_f64_e32 v[74:75], v[91:92], v[74:75]
	v_fma_f64 v[91:92], v[20:21], s[50:51], -v[166:167]
	v_add_f64_e32 v[30:31], v[30:31], v[106:107]
	s_delay_alu instid0(VALU_DEP_2) | instskip(SKIP_1) | instid1(VALU_DEP_3)
	v_add_f64_e32 v[72:73], v[91:92], v[72:73]
	v_fma_f64 v[91:92], v[20:21], s[14:15], -v[182:183]
	v_add_f64_e32 v[30:31], v[30:31], v[242:243]
	v_dual_mov_b32 v243, v227 :: v_dual_mov_b32 v242, v226
	s_delay_alu instid0(VALU_DEP_3) | instskip(SKIP_1) | instid1(VALU_DEP_4)
	v_add_f64_e32 v[74:75], v[91:92], v[74:75]
	v_fma_f64 v[91:92], v[28:29], s[40:41], -v[184:185]
	v_add_f64_e32 v[30:31], v[30:31], v[98:99]
	v_dual_mov_b32 v98, v240 :: v_dual_mov_b32 v99, v241
	v_dual_mov_b32 v241, v155 :: v_dual_mov_b32 v240, v154
	s_delay_alu instid0(VALU_DEP_4) | instskip(SKIP_3) | instid1(VALU_DEP_3)
	v_add_f64_e32 v[72:73], v[91:92], v[72:73]
	v_fma_f64 v[91:92], v[28:29], s[22:23], -v[170:171]
	v_add_f64_e32 v[30:31], v[30:31], v[102:103]
	v_dual_mov_b32 v102, v162 :: v_dual_mov_b32 v103, v163
	v_add_f64_e32 v[74:75], v[91:92], v[74:75]
	v_fma_f64 v[91:92], v[126:127], s[14:15], -v[172:173]
	s_delay_alu instid0(VALU_DEP_4) | instskip(NEXT) | instid1(VALU_DEP_2)
	v_add_f64_e32 v[30:31], v[30:31], v[98:99]
	v_add_f64_e32 v[72:73], v[91:92], v[72:73]
	v_fma_f64 v[91:92], v[126:127], s[50:51], -v[186:187]
	s_delay_alu instid0(VALU_DEP_3) | instskip(NEXT) | instid1(VALU_DEP_2)
	v_add_f64_e32 v[30:31], v[30:31], v[238:239]
	v_add_f64_e32 v[74:75], v[91:92], v[74:75]
	v_fma_f64 v[91:92], v[136:137], s[6:7], -v[174:175]
	s_delay_alu instid0(VALU_DEP_3) | instskip(NEXT) | instid1(VALU_DEP_2)
	;; [unrolled: 4-line block ×7, first 2 shown]
	v_add_f64_e32 v[30:31], v[30:31], v[140:141]
	v_add_f64_e32 v[74:75], v[91:92], v[74:75]
	ds_store_2addr_b64 v86, v[30:31], v[12:13] offset1:7
	v_fma_f64 v[12:13], v[20:21], s[18:19], -v[14:15]
	v_fma_f64 v[30:31], v[254:255], s[40:41], -v[24:25]
	ds_store_2addr_b64 v86, v[74:75], v[72:73] offset0:70 offset1:77
	v_fma_f64 v[72:73], v[10:11], s[28:29], -v[80:81]
	v_fma_f64 v[74:75], v[10:11], s[40:41], -v[84:85]
	v_add_f64_e64 v[80:81], v[198:199], -v[164:165]
	s_delay_alu instid0(VALU_DEP_3) | instskip(SKIP_3) | instid1(VALU_DEP_3)
	v_add_f64_e32 v[58:59], v[72:73], v[58:59]
	v_fma_f64 v[72:73], v[2:3], s[36:37], -v[93:94]
	v_fma_f64 v[2:3], v[2:3], s[50:51], -v[6:7]
	;; [unrolled: 1-line block ×3, first 2 shown]
	v_add_f64_e32 v[72:73], v[246:247], v[72:73]
	s_delay_alu instid0(VALU_DEP_3) | instskip(NEXT) | instid1(VALU_DEP_2)
	v_add_f64_e32 v[2:3], v[246:247], v[2:3]
	v_add_f64_e32 v[72:73], v[74:75], v[72:73]
	s_delay_alu instid0(VALU_DEP_2) | instskip(SKIP_3) | instid1(VALU_DEP_2)
	v_add_f64_e32 v[14:15], v[6:7], v[2:3]
	v_add_f64_e32 v[2:3], v[226:227], v[240:241]
	v_mul_f64_e32 v[6:7], s[48:49], v[62:63]
	v_fma_f64 v[74:75], v[20:21], s[36:37], -v[100:101]
	v_fma_f64 v[8:9], v[2:3], s[50:51], v[6:7]
	s_delay_alu instid0(VALU_DEP_2) | instskip(SKIP_2) | instid1(VALU_DEP_4)
	v_add_f64_e32 v[58:59], v[74:75], v[58:59]
	v_fma_f64 v[74:75], v[20:21], s[6:7], -v[82:83]
	v_fma_f64 v[20:21], v[126:127], s[36:37], -v[18:19]
	v_add_f64_e32 v[18:19], v[234:235], v[8:9]
	scratch_load_b64 v[8:9], off, off offset:40 ; 8-byte Folded Reload
	v_add_f64_e32 v[72:73], v[74:75], v[72:73]
	v_fma_f64 v[74:75], v[28:29], s[50:51], -v[104:105]
	s_delay_alu instid0(VALU_DEP_1) | instskip(SKIP_2) | instid1(VALU_DEP_2)
	v_add_f64_e32 v[58:59], v[74:75], v[58:59]
	v_fma_f64 v[74:75], v[28:29], s[18:19], -v[87:88]
	v_fma_f64 v[28:29], v[136:137], s[22:23], -v[22:23]
	v_add_f64_e32 v[72:73], v[74:75], v[72:73]
	v_fma_f64 v[74:75], v[126:127], s[18:19], -v[108:109]
	s_delay_alu instid0(VALU_DEP_1) | instskip(SKIP_1) | instid1(VALU_DEP_1)
	v_add_f64_e32 v[58:59], v[74:75], v[58:59]
	v_fma_f64 v[74:75], v[126:127], s[28:29], -v[118:119]
	v_add_f64_e32 v[72:73], v[74:75], v[72:73]
	v_fma_f64 v[74:75], v[136:137], s[40:41], -v[120:121]
	s_delay_alu instid0(VALU_DEP_1) | instskip(SKIP_1) | instid1(VALU_DEP_1)
	v_add_f64_e32 v[58:59], v[74:75], v[58:59]
	;; [unrolled: 5-line block ×3, first 2 shown]
	v_fma_f64 v[74:75], v[254:255], s[50:51], -v[110:111]
	v_add_f64_e32 v[72:73], v[74:75], v[72:73]
	v_fma_f64 v[74:75], v[66:67], s[6:7], -v[112:113]
	s_wait_loadcnt 0x0
	v_add_f64_e64 v[70:71], v[8:9], -v[42:43]
	v_add_f64_e32 v[8:9], v[224:225], v[102:103]
	v_dual_mov_b32 v42, v48 :: v_dual_mov_b32 v43, v49
	s_delay_alu instid0(VALU_DEP_4)
	v_add_f64_e32 v[58:59], v[74:75], v[58:59]
	v_fma_f64 v[74:75], v[66:67], s[22:23], -v[78:79]
	v_add_f64_e64 v[78:79], v[200:201], -v[160:161]
	v_mul_f64_e32 v[10:11], s[2:3], v[70:71]
	v_mul_f64_e32 v[126:127], s[42:43], v[70:71]
	;; [unrolled: 1-line block ×3, first 2 shown]
	v_add_f64_e32 v[72:73], v[74:75], v[72:73]
	s_delay_alu instid0(VALU_DEP_4) | instskip(NEXT) | instid1(VALU_DEP_4)
	v_fma_f64 v[22:23], v[8:9], s[6:7], v[10:11]
	v_fma_f64 v[128:129], v[8:9], s[40:41], v[126:127]
	s_delay_alu instid0(VALU_DEP_4)
	v_fma_f64 v[192:193], v[8:9], s[18:19], v[190:191]
	ds_store_2addr_b64 v86, v[72:73], v[58:59] offset0:84 offset1:91
	v_add_f64_e32 v[18:19], v[22:23], v[18:19]
	v_add_f64_e32 v[22:23], v[12:13], v[14:15]
	scratch_load_b64 v[12:13], off, off offset:32 ; 8-byte Folded Reload
	v_add_f64_e32 v[22:23], v[16:17], v[22:23]
	scratch_load_b64 v[16:17], off, off offset:24 ; 8-byte Folded Reload
	s_clause 0x7
	scratch_store_b64 off, v[208:209], off offset:360
	scratch_store_b64 off, v[56:57], off offset:424
	scratch_store_b64 off, v[202:203], off offset:344
	scratch_store_b64 off, v[168:169], off offset:408
	scratch_store_b64 off, v[200:201], off offset:328
	scratch_store_b64 off, v[160:161], off offset:392
	scratch_store_b64 off, v[198:199], off offset:320
	scratch_store_b64 off, v[164:165], off offset:376
	scratch_load_b32 v41, off, off offset:336 th:TH_LOAD_LU ; 4-byte Folded Reload
	v_dual_mov_b32 v56, v220 :: v_dual_mov_b32 v57, v221
	s_clause 0x5
	scratch_store_b64 off, v[222:223], off offset:432
	scratch_store_b64 off, v[54:55], off offset:440
	;; [unrolled: 1-line block ×6, first 2 shown]
	s_wait_loadcnt 0x2
	v_add_f64_e64 v[64:65], v[12:13], -v[46:47]
	v_add_f64_e32 v[12:13], v[220:221], v[44:45]
	v_dual_mov_b32 v46, v224 :: v_dual_mov_b32 v47, v225
	s_delay_alu instid0(VALU_DEP_3) | instskip(SKIP_4) | instid1(VALU_DEP_4)
	v_mul_f64_e32 v[14:15], s[16:17], v[64:65]
	s_wait_loadcnt 0x1
	v_add_f64_e64 v[66:67], v[16:17], -v[50:51]
	v_add_f64_e32 v[16:17], v[218:219], v[48:49]
	v_dual_mov_b32 v51, v45 :: v_dual_mov_b32 v50, v44
	v_fma_f64 v[24:25], v[12:13], s[18:19], v[14:15]
	s_delay_alu instid0(VALU_DEP_1) | instskip(SKIP_1) | instid1(VALU_DEP_1)
	v_add_f64_e32 v[24:25], v[24:25], v[18:19]
	v_mul_f64_e32 v[18:19], s[12:13], v[66:67]
	v_fma_f64 v[26:27], v[16:17], s[14:15], v[18:19]
	s_delay_alu instid0(VALU_DEP_1) | instskip(SKIP_3) | instid1(VALU_DEP_3)
	v_add_f64_e32 v[24:25], v[26:27], v[24:25]
	v_add_f64_e32 v[26:27], v[20:21], v[22:23]
	;; [unrolled: 1-line block ×3, first 2 shown]
	v_mul_f64_e32 v[22:23], s[30:31], v[68:69]
	v_add_f64_e32 v[28:29], v[28:29], v[26:27]
	v_mul_f64_e32 v[26:27], s[20:21], v[76:77]
	s_delay_alu instid0(VALU_DEP_3) | instskip(NEXT) | instid1(VALU_DEP_1)
	v_fma_f64 v[34:35], v[20:21], s[36:37], v[22:23]
	v_add_f64_e32 v[34:35], v[34:35], v[24:25]
	v_add_f64_e32 v[24:25], v[206:207], v[60:61]
	s_delay_alu instid0(VALU_DEP_1) | instskip(NEXT) | instid1(VALU_DEP_1)
	v_fma_f64 v[58:59], v[24:25], s[22:23], v[26:27]
	v_add_f64_e32 v[34:35], v[58:59], v[34:35]
	v_add_f64_e32 v[58:59], v[30:31], v[28:29]
	v_add_f64_e32 v[28:29], v[204:205], v[158:159]
	v_mul_f64_e32 v[30:31], s[38:39], v[78:79]
	s_delay_alu instid0(VALU_DEP_3) | instskip(SKIP_1) | instid1(VALU_DEP_3)
	v_add_f64_e32 v[58:59], v[32:33], v[58:59]
	v_add_f64_e32 v[32:33], v[89:90], v[228:229]
	v_fma_f64 v[72:73], v[28:29], s[40:41], v[30:31]
	ds_store_b64 v86, v[58:59] offset:896
	s_wait_loadcnt 0x0
	v_and_b32_e32 v58, 0xffff, v41
	scratch_load_b32 v41, off, off offset:352 th:TH_LOAD_LU ; 4-byte Folded Reload
	v_add_f64_e32 v[72:73], v[72:73], v[34:35]
	v_mul_f64_e32 v[34:35], s[24:25], v[80:81]
	scratch_store_b64 off, v[204:205], off offset:352 ; 8-byte Folded Spill
	v_mad_u32_u24 v58, 0x3b8, v58, 0
	scratch_store_b64 off, v[206:207], off offset:400 ; 8-byte Folded Spill
	v_fma_f64 v[74:75], v[32:33], s[28:29], v[34:35]
	s_delay_alu instid0(VALU_DEP_1) | instskip(SKIP_1) | instid1(VALU_DEP_1)
	v_add_f64_e32 v[72:73], v[74:75], v[72:73]
	v_mul_f64_e32 v[74:75], s[12:13], v[70:71]
	v_fma_f64 v[82:83], v[8:9], s[14:15], v[74:75]
	s_wait_loadcnt 0x0
	v_lshlrev_b32_e32 v59, 3, v41
	s_delay_alu instid0(VALU_DEP_1) | instskip(SKIP_1) | instid1(VALU_DEP_1)
	v_add3_u32 v87, v58, v59, v97
	v_add_f64_e32 v[58:59], v[234:235], v[226:227]
	v_add_f64_e32 v[58:59], v[58:59], v[224:225]
	s_delay_alu instid0(VALU_DEP_1) | instskip(NEXT) | instid1(VALU_DEP_1)
	v_add_f64_e32 v[58:59], v[58:59], v[220:221]
	v_add_f64_e32 v[58:59], v[58:59], v[218:219]
	s_delay_alu instid0(VALU_DEP_1) | instskip(NEXT) | instid1(VALU_DEP_1)
	;; [unrolled: 3-line block ×3, first 2 shown]
	v_add_f64_e32 v[58:59], v[58:59], v[204:205]
	v_add_f64_e32 v[58:59], v[58:59], v[89:90]
	v_mul_f64_e32 v[88:89], s[20:21], v[70:71]
	s_delay_alu instid0(VALU_DEP_2) | instskip(NEXT) | instid1(VALU_DEP_2)
	v_add_f64_e32 v[58:59], v[58:59], v[228:229]
	v_fma_f64 v[91:92], v[8:9], s[22:23], v[88:89]
	s_delay_alu instid0(VALU_DEP_2) | instskip(NEXT) | instid1(VALU_DEP_1)
	v_add_f64_e32 v[58:59], v[58:59], v[158:159]
	v_add_f64_e32 v[58:59], v[58:59], v[60:61]
	s_delay_alu instid0(VALU_DEP_1) | instskip(NEXT) | instid1(VALU_DEP_1)
	v_add_f64_e32 v[58:59], v[58:59], v[54:55]
	v_add_f64_e32 v[58:59], v[58:59], v[48:49]
	s_delay_alu instid0(VALU_DEP_1) | instskip(NEXT) | instid1(VALU_DEP_1)
	v_add_f64_e32 v[58:59], v[58:59], v[44:45]
	v_add_f64_e32 v[58:59], v[58:59], v[102:103]
	s_delay_alu instid0(VALU_DEP_1) | instskip(SKIP_2) | instid1(VALU_DEP_1)
	v_add_f64_e32 v[58:59], v[58:59], v[240:241]
	ds_store_2addr_b64 v87, v[58:59], v[72:73] offset1:7
	v_mul_f64_e32 v[58:59], s[2:3], v[62:63]
	v_fma_f64 v[72:73], v[2:3], s[6:7], v[58:59]
	v_fma_f64 v[58:59], v[2:3], s[6:7], -v[58:59]
	s_delay_alu instid0(VALU_DEP_2) | instskip(NEXT) | instid1(VALU_DEP_2)
	v_add_f64_e32 v[72:73], v[234:235], v[72:73]
	v_add_f64_e32 v[58:59], v[234:235], v[58:59]
	s_delay_alu instid0(VALU_DEP_2) | instskip(SKIP_1) | instid1(VALU_DEP_1)
	v_add_f64_e32 v[72:73], v[82:83], v[72:73]
	v_mul_f64_e32 v[82:83], s[16:17], v[62:63]
	v_fma_f64 v[84:85], v[2:3], s[18:19], v[82:83]
	s_delay_alu instid0(VALU_DEP_1) | instskip(NEXT) | instid1(VALU_DEP_1)
	v_add_f64_e32 v[84:85], v[234:235], v[84:85]
	v_add_f64_e32 v[84:85], v[91:92], v[84:85]
	v_mul_f64_e32 v[91:92], s[20:21], v[64:65]
	s_delay_alu instid0(VALU_DEP_1) | instskip(NEXT) | instid1(VALU_DEP_1)
	v_fma_f64 v[93:94], v[12:13], s[22:23], v[91:92]
	v_add_f64_e32 v[72:73], v[93:94], v[72:73]
	v_mul_f64_e32 v[93:94], s[26:27], v[64:65]
	s_delay_alu instid0(VALU_DEP_1) | instskip(NEXT) | instid1(VALU_DEP_1)
	v_fma_f64 v[95:96], v[12:13], s[28:29], v[93:94]
	;; [unrolled: 4-line block ×12, first 2 shown]
	v_add_f64_e32 v[84:85], v[120:121], v[84:85]
	v_mul_f64_e32 v[120:121], s[24:25], v[70:71]
	ds_store_2addr_b64 v87, v[72:73], v[84:85] offset0:14 offset1:21
	v_mul_f64_e32 v[72:73], s[12:13], v[62:63]
	v_fma_f64 v[122:123], v[8:9], s[28:29], v[120:121]
	s_delay_alu instid0(VALU_DEP_2) | instskip(NEXT) | instid1(VALU_DEP_1)
	v_fma_f64 v[84:85], v[2:3], s[14:15], v[72:73]
	v_add_f64_e32 v[84:85], v[234:235], v[84:85]
	s_delay_alu instid0(VALU_DEP_1) | instskip(SKIP_1) | instid1(VALU_DEP_1)
	v_add_f64_e32 v[84:85], v[122:123], v[84:85]
	v_mul_f64_e32 v[122:123], s[30:31], v[62:63]
	v_fma_f64 v[124:125], v[2:3], s[36:37], v[122:123]
	s_delay_alu instid0(VALU_DEP_1) | instskip(NEXT) | instid1(VALU_DEP_1)
	v_add_f64_e32 v[124:125], v[234:235], v[124:125]
	v_add_f64_e32 v[124:125], v[128:129], v[124:125]
	v_mul_f64_e32 v[128:129], s[34:35], v[64:65]
	s_delay_alu instid0(VALU_DEP_1) | instskip(NEXT) | instid1(VALU_DEP_1)
	v_fma_f64 v[130:131], v[12:13], s[36:37], v[128:129]
	v_add_f64_e32 v[84:85], v[130:131], v[84:85]
	v_mul_f64_e32 v[130:131], s[44:45], v[64:65]
	s_delay_alu instid0(VALU_DEP_1) | instskip(NEXT) | instid1(VALU_DEP_1)
	v_fma_f64 v[132:133], v[12:13], s[6:7], v[130:131]
	;; [unrolled: 4-line block ×12, first 2 shown]
	v_add_f64_e32 v[124:125], v[184:185], v[124:125]
	v_mul_f64_e32 v[184:185], s[34:35], v[70:71]
	v_mul_f64_e32 v[70:71], s[52:53], v[70:71]
	ds_store_2addr_b64 v87, v[84:85], v[124:125] offset0:28 offset1:35
	v_mul_f64_e32 v[84:85], s[20:21], v[62:63]
	v_fma_f64 v[186:187], v[8:9], s[36:37], v[184:185]
	s_delay_alu instid0(VALU_DEP_2) | instskip(NEXT) | instid1(VALU_DEP_1)
	v_fma_f64 v[124:125], v[2:3], s[22:23], v[84:85]
	v_add_f64_e32 v[124:125], v[234:235], v[124:125]
	s_delay_alu instid0(VALU_DEP_1) | instskip(SKIP_2) | instid1(VALU_DEP_2)
	v_add_f64_e32 v[124:125], v[186:187], v[124:125]
	v_mul_f64_e32 v[186:187], s[38:39], v[62:63]
	v_mul_f64_e32 v[62:63], s[24:25], v[62:63]
	v_fma_f64 v[188:189], v[2:3], s[40:41], v[186:187]
	s_delay_alu instid0(VALU_DEP_1) | instskip(NEXT) | instid1(VALU_DEP_1)
	v_add_f64_e32 v[188:189], v[234:235], v[188:189]
	v_add_f64_e32 v[188:189], v[192:193], v[188:189]
	v_mul_f64_e32 v[192:193], s[48:49], v[64:65]
	s_delay_alu instid0(VALU_DEP_1) | instskip(NEXT) | instid1(VALU_DEP_1)
	v_fma_f64 v[194:195], v[12:13], s[50:51], v[192:193]
	v_add_f64_e32 v[124:125], v[194:195], v[124:125]
	v_mul_f64_e32 v[194:195], s[12:13], v[64:65]
	v_mul_f64_e32 v[64:65], s[38:39], v[64:65]
	s_delay_alu instid0(VALU_DEP_2) | instskip(NEXT) | instid1(VALU_DEP_1)
	v_fma_f64 v[230:231], v[12:13], s[14:15], v[194:195]
	v_add_f64_e32 v[188:189], v[230:231], v[188:189]
	v_mul_f64_e32 v[230:231], s[38:39], v[66:67]
	s_delay_alu instid0(VALU_DEP_1) | instskip(NEXT) | instid1(VALU_DEP_1)
	v_fma_f64 v[246:247], v[16:17], s[40:41], v[230:231]
	v_add_f64_e32 v[124:125], v[246:247], v[124:125]
	v_mul_f64_e32 v[246:247], s[56:57], v[66:67]
	s_delay_alu instid0(VALU_DEP_1) | instskip(NEXT) | instid1(VALU_DEP_1)
	;; [unrolled: 4-line block ×10, first 2 shown]
	v_fma_f64 v[160:161], v[32:33], s[36:37], v[158:159]
	v_add_f64_e32 v[160:161], v[160:161], v[164:165]
	ds_store_2addr_b64 v87, v[124:125], v[160:161] offset0:42 offset1:49
	v_fma_f64 v[124:125], v[2:3], s[28:29], v[62:63]
	v_fma_f64 v[62:63], v[2:3], s[28:29], -v[62:63]
	v_fma_f64 v[160:161], v[8:9], s[50:51], v[70:71]
	v_fma_f64 v[70:71], v[8:9], s[50:51], -v[70:71]
	s_delay_alu instid0(VALU_DEP_4) | instskip(NEXT) | instid1(VALU_DEP_4)
	v_add_f64_e32 v[124:125], v[234:235], v[124:125]
	v_add_f64_e32 v[62:63], v[234:235], v[62:63]
	s_delay_alu instid0(VALU_DEP_2) | instskip(NEXT) | instid1(VALU_DEP_2)
	v_add_f64_e32 v[124:125], v[160:161], v[124:125]
	v_add_f64_e32 v[62:63], v[70:71], v[62:63]
	v_fma_f64 v[70:71], v[12:13], s[40:41], v[64:65]
	v_fma_f64 v[64:65], v[12:13], s[40:41], -v[64:65]
	s_delay_alu instid0(VALU_DEP_2) | instskip(NEXT) | instid1(VALU_DEP_2)
	v_add_f64_e32 v[70:71], v[70:71], v[124:125]
	v_add_f64_e32 v[62:63], v[64:65], v[62:63]
	v_mul_f64_e32 v[64:65], s[44:45], v[66:67]
	s_delay_alu instid0(VALU_DEP_1) | instskip(SKIP_1) | instid1(VALU_DEP_2)
	v_fma_f64 v[66:67], v[16:17], s[6:7], v[64:65]
	v_fma_f64 v[64:65], v[16:17], s[6:7], -v[64:65]
	v_add_f64_e32 v[66:67], v[66:67], v[70:71]
	s_delay_alu instid0(VALU_DEP_2) | instskip(SKIP_1) | instid1(VALU_DEP_1)
	v_add_f64_e32 v[62:63], v[64:65], v[62:63]
	v_mul_f64_e32 v[64:65], s[20:21], v[68:69]
	v_fma_f64 v[68:69], v[20:21], s[22:23], v[64:65]
	v_fma_f64 v[64:65], v[20:21], s[22:23], -v[64:65]
	s_delay_alu instid0(VALU_DEP_2) | instskip(NEXT) | instid1(VALU_DEP_2)
	v_add_f64_e32 v[66:67], v[68:69], v[66:67]
	v_add_f64_e32 v[62:63], v[64:65], v[62:63]
	v_mul_f64_e32 v[64:65], s[46:47], v[76:77]
	s_delay_alu instid0(VALU_DEP_1) | instskip(SKIP_1) | instid1(VALU_DEP_2)
	v_fma_f64 v[68:69], v[24:25], s[18:19], v[64:65]
	v_fma_f64 v[64:65], v[24:25], s[18:19], -v[64:65]
	v_add_f64_e32 v[66:67], v[68:69], v[66:67]
	s_delay_alu instid0(VALU_DEP_2) | instskip(SKIP_1) | instid1(VALU_DEP_1)
	v_add_f64_e32 v[62:63], v[64:65], v[62:63]
	v_mul_f64_e32 v[64:65], s[30:31], v[78:79]
	v_fma_f64 v[68:69], v[28:29], s[36:37], v[64:65]
	v_fma_f64 v[64:65], v[28:29], s[36:37], -v[64:65]
	s_delay_alu instid0(VALU_DEP_2) | instskip(NEXT) | instid1(VALU_DEP_2)
	v_add_f64_e32 v[66:67], v[68:69], v[66:67]
	v_add_f64_e32 v[62:63], v[64:65], v[62:63]
	v_mul_f64_e32 v[64:65], s[54:55], v[80:81]
	s_delay_alu instid0(VALU_DEP_1) | instskip(SKIP_1) | instid1(VALU_DEP_2)
	v_fma_f64 v[68:69], v[32:33], s[14:15], v[64:65]
	v_fma_f64 v[64:65], v[32:33], s[14:15], -v[64:65]
	v_add_f64_e32 v[66:67], v[68:69], v[66:67]
	s_delay_alu instid0(VALU_DEP_2) | instskip(SKIP_4) | instid1(VALU_DEP_2)
	v_add_f64_e32 v[62:63], v[64:65], v[62:63]
	v_fma_f64 v[64:65], v[8:9], s[36:37], -v[184:185]
	ds_store_2addr_b64 v87, v[66:67], v[62:63] offset0:56 offset1:63
	v_fma_f64 v[62:63], v[2:3], s[22:23], -v[84:85]
	v_fma_f64 v[66:67], v[8:9], s[18:19], -v[190:191]
	v_add_f64_e32 v[62:63], v[234:235], v[62:63]
	s_delay_alu instid0(VALU_DEP_1) | instskip(SKIP_2) | instid1(VALU_DEP_2)
	v_add_f64_e32 v[62:63], v[64:65], v[62:63]
	v_fma_f64 v[64:65], v[2:3], s[40:41], -v[186:187]
	v_mov_b32_e32 v187, v97
	v_add_f64_e32 v[64:65], v[234:235], v[64:65]
	s_delay_alu instid0(VALU_DEP_1) | instskip(SKIP_1) | instid1(VALU_DEP_1)
	v_add_f64_e32 v[64:65], v[66:67], v[64:65]
	v_fma_f64 v[66:67], v[12:13], s[50:51], -v[192:193]
	v_add_f64_e32 v[62:63], v[66:67], v[62:63]
	v_fma_f64 v[66:67], v[12:13], s[14:15], -v[194:195]
	s_delay_alu instid0(VALU_DEP_1) | instskip(SKIP_1) | instid1(VALU_DEP_1)
	v_add_f64_e32 v[64:65], v[66:67], v[64:65]
	v_fma_f64 v[66:67], v[16:17], s[40:41], -v[230:231]
	v_add_f64_e32 v[62:63], v[66:67], v[62:63]
	v_fma_f64 v[66:67], v[16:17], s[22:23], -v[246:247]
	;; [unrolled: 5-line block ×6, first 2 shown]
	s_delay_alu instid0(VALU_DEP_1) | instskip(SKIP_4) | instid1(VALU_DEP_2)
	v_add_f64_e32 v[64:65], v[66:67], v[64:65]
	v_fma_f64 v[66:67], v[8:9], s[40:41], -v[126:127]
	ds_store_2addr_b64 v87, v[64:65], v[62:63] offset0:70 offset1:77
	v_fma_f64 v[62:63], v[2:3], s[14:15], -v[72:73]
	v_fma_f64 v[64:65], v[8:9], s[28:29], -v[120:121]
	v_add_f64_e32 v[62:63], v[234:235], v[62:63]
	s_delay_alu instid0(VALU_DEP_1) | instskip(SKIP_1) | instid1(VALU_DEP_1)
	v_add_f64_e32 v[62:63], v[64:65], v[62:63]
	v_fma_f64 v[64:65], v[2:3], s[36:37], -v[122:123]
	v_add_f64_e32 v[64:65], v[234:235], v[64:65]
	s_delay_alu instid0(VALU_DEP_1) | instskip(SKIP_1) | instid1(VALU_DEP_1)
	v_add_f64_e32 v[64:65], v[66:67], v[64:65]
	v_fma_f64 v[66:67], v[12:13], s[36:37], -v[128:129]
	v_add_f64_e32 v[62:63], v[66:67], v[62:63]
	v_fma_f64 v[66:67], v[12:13], s[6:7], -v[130:131]
	s_delay_alu instid0(VALU_DEP_1) | instskip(SKIP_1) | instid1(VALU_DEP_1)
	v_add_f64_e32 v[64:65], v[66:67], v[64:65]
	v_fma_f64 v[66:67], v[16:17], s[50:51], -v[132:133]
	v_add_f64_e32 v[62:63], v[66:67], v[62:63]
	v_fma_f64 v[66:67], v[16:17], s[18:19], -v[136:137]
	;; [unrolled: 5-line block ×6, first 2 shown]
	s_delay_alu instid0(VALU_DEP_1) | instskip(SKIP_3) | instid1(VALU_DEP_2)
	v_add_f64_e32 v[64:65], v[66:67], v[64:65]
	ds_store_2addr_b64 v87, v[64:65], v[62:63] offset0:84 offset1:91
	v_fma_f64 v[62:63], v[8:9], s[14:15], -v[74:75]
	v_fma_f64 v[64:65], v[8:9], s[22:23], -v[88:89]
	v_add_f64_e32 v[58:59], v[62:63], v[58:59]
	v_fma_f64 v[62:63], v[2:3], s[18:19], -v[82:83]
	v_fma_f64 v[2:3], v[2:3], s[50:51], -v[6:7]
	v_fma_f64 v[6:7], v[8:9], s[6:7], -v[10:11]
	v_fma_f64 v[8:9], v[12:13], s[18:19], -v[14:15]
	s_delay_alu instid0(VALU_DEP_4) | instskip(NEXT) | instid1(VALU_DEP_4)
	v_add_f64_e32 v[62:63], v[234:235], v[62:63]
	v_add_f64_e32 v[2:3], v[234:235], v[2:3]
	s_delay_alu instid0(VALU_DEP_2) | instskip(SKIP_1) | instid1(VALU_DEP_3)
	v_add_f64_e32 v[62:63], v[64:65], v[62:63]
	v_fma_f64 v[64:65], v[12:13], s[22:23], -v[91:92]
	v_add_f64_e32 v[2:3], v[6:7], v[2:3]
	v_fma_f64 v[6:7], v[16:17], s[14:15], -v[18:19]
	s_delay_alu instid0(VALU_DEP_3) | instskip(SKIP_1) | instid1(VALU_DEP_4)
	v_add_f64_e32 v[58:59], v[64:65], v[58:59]
	v_fma_f64 v[64:65], v[12:13], s[28:29], -v[93:94]
	v_add_f64_e32 v[2:3], v[8:9], v[2:3]
	v_fma_f64 v[8:9], v[20:21], s[36:37], -v[22:23]
	s_delay_alu instid0(VALU_DEP_3) | instskip(SKIP_1) | instid1(VALU_DEP_4)
	v_add_f64_e32 v[62:63], v[64:65], v[62:63]
	v_fma_f64 v[64:65], v[16:17], s[28:29], -v[95:96]
	v_add_f64_e32 v[2:3], v[6:7], v[2:3]
	v_fma_f64 v[6:7], v[24:25], s[22:23], -v[26:27]
	s_delay_alu instid0(VALU_DEP_3) | instskip(SKIP_1) | instid1(VALU_DEP_4)
	v_add_f64_e32 v[58:59], v[64:65], v[58:59]
	v_fma_f64 v[64:65], v[16:17], s[36:37], -v[100:101]
	v_add_f64_e32 v[2:3], v[8:9], v[2:3]
	v_fma_f64 v[8:9], v[28:29], s[40:41], -v[30:31]
	s_delay_alu instid0(VALU_DEP_3) | instskip(SKIP_1) | instid1(VALU_DEP_4)
	v_add_f64_e32 v[62:63], v[64:65], v[62:63]
	v_fma_f64 v[64:65], v[20:21], s[40:41], -v[104:105]
	v_add_f64_e32 v[2:3], v[6:7], v[2:3]
	v_fma_f64 v[6:7], v[32:33], s[28:29], -v[34:35]
	s_delay_alu instid0(VALU_DEP_3) | instskip(SKIP_1) | instid1(VALU_DEP_4)
	v_add_f64_e32 v[58:59], v[64:65], v[58:59]
	v_fma_f64 v[64:65], v[20:21], s[6:7], -v[106:107]
	v_add_f64_e32 v[2:3], v[8:9], v[2:3]
	s_delay_alu instid0(VALU_DEP_2) | instskip(SKIP_1) | instid1(VALU_DEP_3)
	v_add_f64_e32 v[62:63], v[64:65], v[62:63]
	v_fma_f64 v[64:65], v[24:25], s[36:37], -v[108:109]
	v_add_f64_e32 v[2:3], v[6:7], v[2:3]
	s_delay_alu instid0(VALU_DEP_2) | instskip(SKIP_4) | instid1(VALU_DEP_1)
	v_add_f64_e32 v[58:59], v[64:65], v[58:59]
	v_fma_f64 v[64:65], v[24:25], s[50:51], -v[110:111]
	ds_store_b64 v87, v[2:3] offset:896
	v_add_f64_e32 v[62:63], v[64:65], v[62:63]
	v_fma_f64 v[64:65], v[28:29], s[18:19], -v[112:113]
	v_add_f64_e32 v[58:59], v[64:65], v[58:59]
	v_fma_f64 v[64:65], v[28:29], s[14:15], -v[114:115]
	s_delay_alu instid0(VALU_DEP_1) | instskip(SKIP_1) | instid1(VALU_DEP_1)
	v_add_f64_e32 v[62:63], v[64:65], v[62:63]
	v_fma_f64 v[64:65], v[32:33], s[50:51], -v[116:117]
	v_add_f64_e32 v[58:59], v[64:65], v[58:59]
	v_fma_f64 v[64:65], v[32:33], s[40:41], -v[118:119]
	s_delay_alu instid0(VALU_DEP_1)
	v_add_f64_e32 v[62:63], v[64:65], v[62:63]
	ds_store_2addr_b64 v87, v[62:63], v[58:59] offset0:98 offset1:105
	v_lshlrev_b32_e32 v62, 3, v38
	s_and_saveexec_b32 s1, s0
	s_cbranch_execz .LBB0_18
; %bb.17:
	s_clause 0x3
	scratch_load_b64 v[2:3], off, off offset:64
	scratch_load_b64 v[6:7], off, off offset:296
	;; [unrolled: 1-line block ×4, first 2 shown]
	v_add3_u32 v85, 0, v62, v187
	s_delay_alu instid0(VALU_DEP_1) | instskip(SKIP_4) | instid1(VALU_DEP_2)
	v_add_nc_u32_e32 v160, 0x1000, v85
	s_wait_loadcnt 0x2
	v_add_f64_e64 v[6:7], v[6:7], -v[2:3]
	s_wait_loadcnt 0x0
	v_add_f64_e32 v[2:3], v[196:197], v[194:195]
	v_mul_f64_e32 v[14:15], s[38:39], v[6:7]
	v_mul_f64_e32 v[20:21], s[20:21], v[6:7]
	s_delay_alu instid0(VALU_DEP_2) | instskip(SKIP_1) | instid1(VALU_DEP_2)
	v_fma_f64 v[8:9], v[2:3], s[40:41], v[14:15]
	v_fma_f64 v[14:15], v[2:3], s[40:41], -v[14:15]
	v_add_f64_e32 v[12:13], v[4:5], v[8:9]
	s_clause 0x3
	scratch_load_b64 v[8:9], off, off offset:72
	scratch_load_b64 v[10:11], off, off offset:168
	;; [unrolled: 1-line block ×4, first 2 shown]
	v_add_f64_e32 v[14:15], v[4:5], v[14:15]
	s_wait_loadcnt 0x2
	v_add_f64_e64 v[10:11], v[10:11], -v[8:9]
	s_wait_loadcnt 0x0
	v_add_f64_e32 v[8:9], v[161:162], v[192:193]
	s_delay_alu instid0(VALU_DEP_2) | instskip(SKIP_2) | instid1(VALU_DEP_3)
	v_mul_f64_e32 v[16:17], s[46:47], v[10:11]
	v_mul_f64_e32 v[22:23], s[34:35], v[10:11]
	v_mul_f64_e32 v[110:111], s[12:13], v[10:11]
	v_fma_f64 v[18:19], v[8:9], s[18:19], v[16:17]
	s_delay_alu instid0(VALU_DEP_3) | instskip(SKIP_1) | instid1(VALU_DEP_4)
	v_fma_f64 v[24:25], v[8:9], s[36:37], v[22:23]
	v_fma_f64 v[16:17], v[8:9], s[18:19], -v[16:17]
	v_fma_f64 v[112:113], v[8:9], s[14:15], -v[110:111]
	s_delay_alu instid0(VALU_DEP_4) | instskip(SKIP_1) | instid1(VALU_DEP_4)
	v_add_f64_e32 v[18:19], v[18:19], v[12:13]
	v_fma_f64 v[12:13], v[2:3], s[22:23], v[20:21]
	v_add_f64_e32 v[14:15], v[16:17], v[14:15]
	v_fma_f64 v[16:17], v[2:3], s[22:23], -v[20:21]
	s_delay_alu instid0(VALU_DEP_3) | instskip(NEXT) | instid1(VALU_DEP_2)
	v_add_f64_e32 v[12:13], v[4:5], v[12:13]
	v_add_f64_e32 v[16:17], v[4:5], v[16:17]
	s_delay_alu instid0(VALU_DEP_2)
	v_add_f64_e32 v[24:25], v[24:25], v[12:13]
	s_clause 0x3
	scratch_load_b64 v[12:13], off, off offset:80
	scratch_load_b64 v[26:27], off, off offset:152
	scratch_load_b64 v[163:164], off, off offset:192
	scratch_load_b64 v[190:191], off, off offset:280
	s_wait_loadcnt 0x2
	v_add_f64_e64 v[26:27], v[26:27], -v[12:13]
	s_wait_loadcnt 0x0
	v_add_f64_e32 v[12:13], v[163:164], v[190:191]
	s_delay_alu instid0(VALU_DEP_2) | instskip(NEXT) | instid1(VALU_DEP_1)
	v_mul_f64_e32 v[28:29], s[12:13], v[26:27]
	v_fma_f64 v[30:31], v[12:13], s[14:15], v[28:29]
	s_delay_alu instid0(VALU_DEP_1) | instskip(SKIP_1) | instid1(VALU_DEP_1)
	v_add_f64_e32 v[18:19], v[30:31], v[18:19]
	v_mul_f64_e32 v[30:31], s[48:49], v[26:27]
	v_fma_f64 v[32:33], v[12:13], s[50:51], v[30:31]
	s_delay_alu instid0(VALU_DEP_1)
	v_add_f64_e32 v[24:25], v[32:33], v[24:25]
	s_clause 0x3
	scratch_load_b64 v[32:33], off, off offset:88
	scratch_load_b64 v[34:35], off, off offset:128
	scratch_load_b64 v[165:166], off, off offset:200
	scratch_load_b64 v[188:189], off, off offset:272
	s_wait_loadcnt 0x2
	v_add_f64_e64 v[32:33], v[34:35], -v[32:33]
	s_wait_loadcnt 0x0
	v_add_f64_e32 v[34:35], v[165:166], v[188:189]
	s_delay_alu instid0(VALU_DEP_2) | instskip(NEXT) | instid1(VALU_DEP_1)
	v_mul_f64_e32 v[58:59], s[56:57], v[32:33]
	v_fma_f64 v[63:64], v[34:35], s[22:23], v[58:59]
	s_delay_alu instid0(VALU_DEP_1) | instskip(SKIP_1) | instid1(VALU_DEP_1)
	v_add_f64_e32 v[18:19], v[63:64], v[18:19]
	v_mul_f64_e32 v[63:64], s[38:39], v[32:33]
	v_fma_f64 v[65:66], v[34:35], s[40:41], v[63:64]
	s_delay_alu instid0(VALU_DEP_1)
	;; [unrolled: 18-line block ×6, first 2 shown]
	v_add_f64_e32 v[24:25], v[104:105], v[24:25]
	v_mul_f64_e32 v[104:105], s[52:53], v[10:11]
	ds_store_2addr_b64 v160, v[24:25], v[18:19] offset0:6 offset1:13
	v_mul_f64_e32 v[18:19], s[24:25], v[6:7]
	v_fma_f64 v[106:107], v[8:9], s[50:51], -v[104:105]
	v_fma_f64 v[104:105], v[8:9], s[50:51], v[104:105]
	s_delay_alu instid0(VALU_DEP_3) | instskip(SKIP_1) | instid1(VALU_DEP_2)
	v_fma_f64 v[24:25], v[2:3], s[28:29], -v[18:19]
	v_fma_f64 v[18:19], v[2:3], s[28:29], v[18:19]
	v_add_f64_e32 v[24:25], v[4:5], v[24:25]
	s_delay_alu instid0(VALU_DEP_2) | instskip(NEXT) | instid1(VALU_DEP_2)
	v_add_f64_e32 v[18:19], v[4:5], v[18:19]
	v_add_f64_e32 v[24:25], v[106:107], v[24:25]
	s_delay_alu instid0(VALU_DEP_2) | instskip(SKIP_1) | instid1(VALU_DEP_1)
	v_add_f64_e32 v[18:19], v[104:105], v[18:19]
	v_mul_f64_e32 v[104:105], s[38:39], v[26:27]
	v_fma_f64 v[106:107], v[12:13], s[40:41], -v[104:105]
	v_fma_f64 v[104:105], v[12:13], s[40:41], v[104:105]
	s_delay_alu instid0(VALU_DEP_2) | instskip(NEXT) | instid1(VALU_DEP_2)
	v_add_f64_e32 v[24:25], v[106:107], v[24:25]
	v_add_f64_e32 v[18:19], v[104:105], v[18:19]
	v_mul_f64_e32 v[104:105], s[44:45], v[32:33]
	s_delay_alu instid0(VALU_DEP_1) | instskip(SKIP_1) | instid1(VALU_DEP_2)
	v_fma_f64 v[106:107], v[34:35], s[6:7], -v[104:105]
	v_fma_f64 v[104:105], v[34:35], s[6:7], v[104:105]
	v_add_f64_e32 v[24:25], v[106:107], v[24:25]
	s_delay_alu instid0(VALU_DEP_2) | instskip(SKIP_1) | instid1(VALU_DEP_1)
	v_add_f64_e32 v[18:19], v[104:105], v[18:19]
	v_mul_f64_e32 v[104:105], s[20:21], v[65:66]
	v_fma_f64 v[106:107], v[67:68], s[22:23], -v[104:105]
	v_fma_f64 v[104:105], v[67:68], s[22:23], v[104:105]
	s_delay_alu instid0(VALU_DEP_2) | instskip(NEXT) | instid1(VALU_DEP_2)
	v_add_f64_e32 v[24:25], v[106:107], v[24:25]
	v_add_f64_e32 v[18:19], v[104:105], v[18:19]
	v_mul_f64_e32 v[104:105], s[46:47], v[73:74]
	s_delay_alu instid0(VALU_DEP_1) | instskip(SKIP_1) | instid1(VALU_DEP_2)
	v_fma_f64 v[106:107], v[75:76], s[18:19], -v[104:105]
	v_fma_f64 v[104:105], v[75:76], s[18:19], v[104:105]
	;; [unrolled: 13-line block ×3, first 2 shown]
	v_add_f64_e32 v[24:25], v[106:107], v[24:25]
	s_delay_alu instid0(VALU_DEP_2) | instskip(SKIP_3) | instid1(VALU_DEP_2)
	v_add_f64_e32 v[18:19], v[104:105], v[18:19]
	ds_store_2addr_b64 v160, v[18:19], v[24:25] offset0:20 offset1:27
	v_fma_f64 v[18:19], v[8:9], s[36:37], -v[22:23]
	v_mul_f64_e32 v[24:25], s[24:25], v[10:11]
	v_add_f64_e32 v[16:17], v[18:19], v[16:17]
	v_fma_f64 v[18:19], v[12:13], s[14:15], -v[28:29]
	s_delay_alu instid0(VALU_DEP_3) | instskip(NEXT) | instid1(VALU_DEP_2)
	v_fma_f64 v[28:29], v[8:9], s[28:29], -v[24:25]
	v_add_f64_e32 v[14:15], v[18:19], v[14:15]
	v_fma_f64 v[18:19], v[12:13], s[50:51], -v[30:31]
	s_delay_alu instid0(VALU_DEP_1) | instskip(SKIP_1) | instid1(VALU_DEP_1)
	v_add_f64_e32 v[16:17], v[18:19], v[16:17]
	v_fma_f64 v[18:19], v[34:35], s[22:23], -v[58:59]
	v_add_f64_e32 v[14:15], v[18:19], v[14:15]
	v_fma_f64 v[18:19], v[34:35], s[40:41], -v[63:64]
	s_delay_alu instid0(VALU_DEP_1) | instskip(SKIP_1) | instid1(VALU_DEP_1)
	v_add_f64_e32 v[16:17], v[18:19], v[16:17]
	;; [unrolled: 5-line block ×5, first 2 shown]
	v_fma_f64 v[18:19], v[94:95], s[36:37], -v[96:97]
	v_add_f64_e32 v[14:15], v[18:19], v[14:15]
	v_fma_f64 v[18:19], v[94:95], s[18:19], -v[100:101]
	s_delay_alu instid0(VALU_DEP_1) | instskip(SKIP_4) | instid1(VALU_DEP_2)
	v_add_f64_e32 v[16:17], v[18:19], v[16:17]
	v_mul_f64_e32 v[18:19], s[42:43], v[10:11]
	ds_store_2addr_b64 v160, v[14:15], v[16:17] offset0:34 offset1:41
	v_mul_f64_e32 v[14:15], s[30:31], v[6:7]
	v_fma_f64 v[20:21], v[8:9], s[40:41], -v[18:19]
	v_fma_f64 v[16:17], v[2:3], s[36:37], -v[14:15]
	v_fma_f64 v[14:15], v[2:3], s[36:37], v[14:15]
	s_delay_alu instid0(VALU_DEP_2) | instskip(NEXT) | instid1(VALU_DEP_2)
	v_add_f64_e32 v[16:17], v[4:5], v[16:17]
	v_add_f64_e32 v[14:15], v[4:5], v[14:15]
	s_delay_alu instid0(VALU_DEP_2) | instskip(SKIP_1) | instid1(VALU_DEP_1)
	v_add_f64_e32 v[16:17], v[20:21], v[16:17]
	v_mul_f64_e32 v[20:21], s[12:13], v[6:7]
	v_fma_f64 v[22:23], v[2:3], s[14:15], -v[20:21]
	s_delay_alu instid0(VALU_DEP_1) | instskip(NEXT) | instid1(VALU_DEP_1)
	v_add_f64_e32 v[22:23], v[4:5], v[22:23]
	v_add_f64_e32 v[22:23], v[28:29], v[22:23]
	v_mul_f64_e32 v[28:29], s[44:45], v[26:27]
	s_delay_alu instid0(VALU_DEP_1) | instskip(NEXT) | instid1(VALU_DEP_1)
	v_fma_f64 v[30:31], v[12:13], s[6:7], -v[28:29]
	v_add_f64_e32 v[16:17], v[30:31], v[16:17]
	v_mul_f64_e32 v[30:31], s[34:35], v[26:27]
	s_delay_alu instid0(VALU_DEP_1) | instskip(NEXT) | instid1(VALU_DEP_1)
	v_fma_f64 v[58:59], v[12:13], s[36:37], -v[30:31]
	;; [unrolled: 4-line block ×12, first 2 shown]
	v_add_f64_e32 v[22:23], v[104:105], v[22:23]
	v_mul_f64_e32 v[104:105], s[20:21], v[10:11]
	v_mul_f64_e32 v[10:11], s[2:3], v[10:11]
	ds_store_2addr_b64 v160, v[16:17], v[22:23] offset0:48 offset1:55
	v_mul_f64_e32 v[16:17], s[16:17], v[6:7]
	v_fma_f64 v[106:107], v[8:9], s[22:23], -v[104:105]
	s_delay_alu instid0(VALU_DEP_2) | instskip(SKIP_1) | instid1(VALU_DEP_2)
	v_fma_f64 v[22:23], v[2:3], s[18:19], -v[16:17]
	v_fma_f64 v[16:17], v[2:3], s[18:19], v[16:17]
	v_add_f64_e32 v[22:23], v[4:5], v[22:23]
	s_delay_alu instid0(VALU_DEP_2) | instskip(NEXT) | instid1(VALU_DEP_2)
	v_add_f64_e32 v[16:17], v[4:5], v[16:17]
	v_add_f64_e32 v[22:23], v[106:107], v[22:23]
	v_mul_f64_e32 v[106:107], s[2:3], v[6:7]
	v_mul_f64_e32 v[6:7], s[48:49], v[6:7]
	s_delay_alu instid0(VALU_DEP_2) | instskip(NEXT) | instid1(VALU_DEP_1)
	v_fma_f64 v[108:109], v[2:3], s[6:7], -v[106:107]
	v_add_f64_e32 v[108:109], v[4:5], v[108:109]
	s_delay_alu instid0(VALU_DEP_1) | instskip(SKIP_1) | instid1(VALU_DEP_1)
	v_add_f64_e32 v[108:109], v[112:113], v[108:109]
	v_mul_f64_e32 v[112:113], s[26:27], v[26:27]
	v_fma_f64 v[114:115], v[12:13], s[28:29], -v[112:113]
	s_delay_alu instid0(VALU_DEP_1) | instskip(SKIP_1) | instid1(VALU_DEP_1)
	v_add_f64_e32 v[22:23], v[114:115], v[22:23]
	v_mul_f64_e32 v[114:115], s[20:21], v[26:27]
	v_fma_f64 v[116:117], v[12:13], s[22:23], -v[114:115]
	;; [unrolled: 4-line block ×12, first 2 shown]
	s_delay_alu instid0(VALU_DEP_1) | instskip(SKIP_3) | instid1(VALU_DEP_2)
	v_add_f64_e32 v[108:109], v[158:159], v[108:109]
	ds_store_2addr_b64 v160, v[22:23], v[108:109] offset0:62 offset1:69
	v_fma_f64 v[22:23], v[8:9], s[22:23], v[104:105]
	v_fma_f64 v[104:105], v[8:9], s[14:15], v[110:111]
	v_add_f64_e32 v[16:17], v[22:23], v[16:17]
	v_fma_f64 v[22:23], v[2:3], s[6:7], v[106:107]
	s_delay_alu instid0(VALU_DEP_1) | instskip(NEXT) | instid1(VALU_DEP_1)
	v_add_f64_e32 v[22:23], v[4:5], v[22:23]
	v_add_f64_e32 v[22:23], v[104:105], v[22:23]
	v_fma_f64 v[104:105], v[12:13], s[28:29], v[112:113]
	s_delay_alu instid0(VALU_DEP_1) | instskip(SKIP_1) | instid1(VALU_DEP_1)
	v_add_f64_e32 v[16:17], v[104:105], v[16:17]
	v_fma_f64 v[104:105], v[12:13], s[22:23], v[114:115]
	v_add_f64_e32 v[22:23], v[104:105], v[22:23]
	v_fma_f64 v[104:105], v[34:35], s[36:37], v[116:117]
	s_delay_alu instid0(VALU_DEP_1) | instskip(SKIP_1) | instid1(VALU_DEP_1)
	v_add_f64_e32 v[16:17], v[104:105], v[16:17]
	v_fma_f64 v[104:105], v[34:35], s[28:29], v[118:119]
	;; [unrolled: 5-line block ×6, first 2 shown]
	v_add_f64_e32 v[22:23], v[104:105], v[22:23]
	v_add_nc_u32_e32 v104, 0x800, v85
	ds_store_2addr_b64 v104, v[22:23], v[16:17] offset0:234 offset1:241
	v_fma_f64 v[16:17], v[8:9], s[40:41], v[18:19]
	v_fma_f64 v[18:19], v[8:9], s[28:29], v[24:25]
	s_delay_alu instid0(VALU_DEP_2) | instskip(SKIP_1) | instid1(VALU_DEP_1)
	v_add_f64_e32 v[14:15], v[16:17], v[14:15]
	v_fma_f64 v[16:17], v[2:3], s[14:15], v[20:21]
	v_add_f64_e32 v[16:17], v[4:5], v[16:17]
	s_delay_alu instid0(VALU_DEP_1) | instskip(SKIP_1) | instid1(VALU_DEP_1)
	v_add_f64_e32 v[16:17], v[18:19], v[16:17]
	v_fma_f64 v[18:19], v[12:13], s[6:7], v[28:29]
	v_add_f64_e32 v[14:15], v[18:19], v[14:15]
	v_fma_f64 v[18:19], v[12:13], s[36:37], v[30:31]
	s_delay_alu instid0(VALU_DEP_1) | instskip(SKIP_1) | instid1(VALU_DEP_1)
	v_add_f64_e32 v[16:17], v[18:19], v[16:17]
	v_fma_f64 v[18:19], v[34:35], s[18:19], v[58:59]
	v_add_f64_e32 v[14:15], v[18:19], v[14:15]
	v_fma_f64 v[18:19], v[34:35], s[50:51], v[63:64]
	;; [unrolled: 5-line block ×6, first 2 shown]
	s_delay_alu instid0(VALU_DEP_1) | instskip(SKIP_4) | instid1(VALU_DEP_3)
	v_add_f64_e32 v[16:17], v[18:19], v[16:17]
	ds_store_2addr_b64 v104, v[16:17], v[14:15] offset0:248 offset1:255
	v_fma_f64 v[14:15], v[2:3], s[50:51], v[6:7]
	v_fma_f64 v[16:17], v[8:9], s[6:7], v[10:11]
	v_fma_f64 v[2:3], v[2:3], s[50:51], -v[6:7]
	v_add_f64_e32 v[14:15], v[4:5], v[14:15]
	s_delay_alu instid0(VALU_DEP_2) | instskip(NEXT) | instid1(VALU_DEP_2)
	v_add_f64_e32 v[2:3], v[4:5], v[2:3]
	v_add_f64_e32 v[14:15], v[16:17], v[14:15]
	v_mul_f64_e32 v[16:17], s[16:17], v[26:27]
	s_delay_alu instid0(VALU_DEP_1) | instskip(SKIP_1) | instid1(VALU_DEP_2)
	v_fma_f64 v[18:19], v[12:13], s[18:19], v[16:17]
	v_fma_f64 v[6:7], v[12:13], s[18:19], -v[16:17]
	v_add_f64_e32 v[14:15], v[18:19], v[14:15]
	v_mul_f64_e32 v[18:19], s[12:13], v[32:33]
	s_delay_alu instid0(VALU_DEP_1) | instskip(NEXT) | instid1(VALU_DEP_1)
	v_fma_f64 v[20:21], v[34:35], s[14:15], v[18:19]
	v_add_f64_e32 v[14:15], v[20:21], v[14:15]
	v_mul_f64_e32 v[20:21], s[30:31], v[65:66]
	s_delay_alu instid0(VALU_DEP_1) | instskip(NEXT) | instid1(VALU_DEP_1)
	v_fma_f64 v[22:23], v[67:68], s[36:37], v[20:21]
	;; [unrolled: 4-line block ×5, first 2 shown]
	v_add_f64_e32 v[14:15], v[28:29], v[14:15]
	v_add_f64_e32 v[28:29], v[4:5], v[196:197]
	v_fma_f64 v[4:5], v[8:9], s[6:7], -v[10:11]
	s_delay_alu instid0(VALU_DEP_2) | instskip(NEXT) | instid1(VALU_DEP_2)
	v_add_f64_e32 v[28:29], v[28:29], v[161:162]
	v_add_f64_e32 v[2:3], v[4:5], v[2:3]
	v_fma_f64 v[4:5], v[34:35], s[14:15], -v[18:19]
	s_delay_alu instid0(VALU_DEP_3) | instskip(NEXT) | instid1(VALU_DEP_3)
	v_add_f64_e32 v[28:29], v[28:29], v[163:164]
	v_add_f64_e32 v[2:3], v[6:7], v[2:3]
	v_fma_f64 v[6:7], v[67:68], s[36:37], -v[20:21]
	s_delay_alu instid0(VALU_DEP_3) | instskip(NEXT) | instid1(VALU_DEP_3)
	v_add_f64_e32 v[28:29], v[28:29], v[165:166]
	v_add_f64_e32 v[2:3], v[4:5], v[2:3]
	v_fma_f64 v[4:5], v[75:76], s[22:23], -v[22:23]
	s_delay_alu instid0(VALU_DEP_3) | instskip(NEXT) | instid1(VALU_DEP_3)
	v_add_f64_e32 v[28:29], v[28:29], v[170:171]
	v_add_f64_e32 v[2:3], v[6:7], v[2:3]
	v_fma_f64 v[6:7], v[83:84], s[40:41], -v[24:25]
	s_delay_alu instid0(VALU_DEP_3) | instskip(NEXT) | instid1(VALU_DEP_3)
	v_add_f64_e32 v[28:29], v[28:29], v[172:173]
	v_add_f64_e32 v[2:3], v[4:5], v[2:3]
	v_fma_f64 v[4:5], v[94:95], s[28:29], -v[26:27]
	s_delay_alu instid0(VALU_DEP_3) | instskip(NEXT) | instid1(VALU_DEP_3)
	v_add_f64_e32 v[28:29], v[28:29], v[174:175]
	v_add_f64_e32 v[2:3], v[6:7], v[2:3]
	s_delay_alu instid0(VALU_DEP_2) | instskip(NEXT) | instid1(VALU_DEP_2)
	v_add_f64_e32 v[28:29], v[28:29], v[176:177]
	v_add_f64_e32 v[2:3], v[4:5], v[2:3]
	s_delay_alu instid0(VALU_DEP_2) | instskip(SKIP_2) | instid1(VALU_DEP_1)
	v_add_f64_e32 v[28:29], v[28:29], v[178:179]
	ds_store_b64 v85, v[2:3] offset:4704
	v_add_f64_e32 v[28:29], v[28:29], v[180:181]
	v_add_f64_e32 v[28:29], v[28:29], v[182:183]
	s_delay_alu instid0(VALU_DEP_1) | instskip(NEXT) | instid1(VALU_DEP_1)
	v_add_f64_e32 v[28:29], v[28:29], v[184:185]
	v_add_f64_e32 v[28:29], v[28:29], v[188:189]
	s_delay_alu instid0(VALU_DEP_1) | instskip(NEXT) | instid1(VALU_DEP_1)
	v_add_f64_e32 v[28:29], v[28:29], v[190:191]
	v_add_f64_e32 v[28:29], v[28:29], v[192:193]
	s_delay_alu instid0(VALU_DEP_1)
	v_add_f64_e32 v[28:29], v[28:29], v[194:195]
	ds_store_2addr_b64 v104, v[28:29], v[14:15] offset0:220 offset1:227
.LBB0_18:
	s_wait_alu 0xfffe
	s_or_b32 exec_lo, exec_lo, s1
	s_clause 0xc
	scratch_load_b64 v[4:5], off, off offset:600 th:TH_LOAD_LU
	scratch_load_b64 v[58:59], off, off offset:592 th:TH_LOAD_LU
	;; [unrolled: 1-line block ×13, first 2 shown]
	s_wait_loadcnt 0xc
	v_add_f64_e32 v[2:3], v[216:217], v[4:5]
	s_wait_loadcnt 0xb
	s_delay_alu instid0(VALU_DEP_1) | instskip(SKIP_1) | instid1(VALU_DEP_1)
	v_add_f64_e32 v[2:3], v[2:3], v[58:59]
	s_wait_loadcnt 0xa
	v_add_f64_e32 v[2:3], v[2:3], v[77:78]
	s_wait_loadcnt 0x8
	s_delay_alu instid0(VALU_DEP_1) | instskip(SKIP_1) | instid1(VALU_DEP_1)
	v_add_f64_e32 v[2:3], v[2:3], v[73:74]
	;; [unrolled: 5-line block ×4, first 2 shown]
	s_wait_loadcnt 0x1
	v_add_f64_e32 v[2:3], v[2:3], v[54:55]
	s_delay_alu instid0(VALU_DEP_1) | instskip(NEXT) | instid1(VALU_DEP_1)
	v_add_f64_e32 v[2:3], v[2:3], v[60:61]
	v_add_f64_e32 v[2:3], v[2:3], v[71:72]
	s_delay_alu instid0(VALU_DEP_1) | instskip(SKIP_1) | instid1(VALU_DEP_1)
	v_add_f64_e32 v[2:3], v[2:3], v[75:76]
	s_wait_loadcnt 0x0
	v_add_f64_e32 v[2:3], v[2:3], v[79:80]
	s_delay_alu instid0(VALU_DEP_1) | instskip(NEXT) | instid1(VALU_DEP_1)
	v_add_f64_e32 v[2:3], v[2:3], v[142:143]
	v_add_f64_e32 v[2:3], v[2:3], v[138:139]
	s_delay_alu instid0(VALU_DEP_1) | instskip(SKIP_2) | instid1(VALU_DEP_2)
	v_add_f64_e32 v[136:137], v[2:3], v[134:135]
	v_add_f64_e32 v[2:3], v[4:5], v[134:135]
	v_add_f64_e64 v[4:5], v[146:147], -v[140:141]
	v_mul_f64_e32 v[6:7], s[50:51], v[2:3]
	v_mul_f64_e32 v[10:11], s[6:7], v[2:3]
	;; [unrolled: 1-line block ×8, first 2 shown]
	v_fma_f64 v[8:9], v[4:5], s[52:53], v[6:7]
	v_fma_f64 v[6:7], v[4:5], s[48:49], v[6:7]
	v_fma_f64 v[12:13], v[4:5], s[44:45], v[10:11]
	v_fma_f64 v[10:11], v[4:5], s[2:3], v[10:11]
	v_fma_f64 v[16:17], v[4:5], s[46:47], v[14:15]
	v_fma_f64 v[14:15], v[4:5], s[16:17], v[14:15]
	v_fma_f64 v[20:21], v[4:5], s[54:55], v[18:19]
	v_fma_f64 v[18:19], v[4:5], s[12:13], v[18:19]
	v_fma_f64 v[24:25], v[4:5], s[34:35], v[22:23]
	v_fma_f64 v[22:23], v[4:5], s[30:31], v[22:23]
	v_fma_f64 v[28:29], v[4:5], s[56:57], v[26:27]
	v_fma_f64 v[26:27], v[4:5], s[20:21], v[26:27]
	v_fma_f64 v[32:33], v[4:5], s[42:43], v[30:31]
	v_fma_f64 v[30:31], v[4:5], s[38:39], v[30:31]
	v_fma_f64 v[34:35], v[4:5], s[26:27], v[2:3]
	v_fma_f64 v[2:3], v[4:5], s[24:25], v[2:3]
	v_add_f64_e32 v[4:5], v[58:59], v[138:139]
	v_add_f64_e64 v[58:59], v[152:153], -v[144:145]
	v_add_f64_e32 v[8:9], v[216:217], v[8:9]
	v_add_f64_e32 v[6:7], v[216:217], v[6:7]
	;; [unrolled: 1-line block ×16, first 2 shown]
	v_mul_f64_e32 v[63:64], s[6:7], v[4:5]
	s_delay_alu instid0(VALU_DEP_1) | instskip(SKIP_1) | instid1(VALU_DEP_2)
	v_fma_f64 v[65:66], v[58:59], s[44:45], v[63:64]
	v_fma_f64 v[63:64], v[58:59], s[2:3], v[63:64]
	v_add_f64_e32 v[8:9], v[65:66], v[8:9]
	s_delay_alu instid0(VALU_DEP_2) | instskip(SKIP_1) | instid1(VALU_DEP_1)
	v_add_f64_e32 v[6:7], v[63:64], v[6:7]
	v_mul_f64_e32 v[63:64], s[14:15], v[4:5]
	v_fma_f64 v[65:66], v[58:59], s[54:55], v[63:64]
	v_fma_f64 v[63:64], v[58:59], s[12:13], v[63:64]
	s_delay_alu instid0(VALU_DEP_2) | instskip(NEXT) | instid1(VALU_DEP_2)
	v_add_f64_e32 v[12:13], v[65:66], v[12:13]
	v_add_f64_e32 v[10:11], v[63:64], v[10:11]
	v_mul_f64_e32 v[63:64], s[22:23], v[4:5]
	s_delay_alu instid0(VALU_DEP_1) | instskip(SKIP_1) | instid1(VALU_DEP_2)
	v_fma_f64 v[65:66], v[58:59], s[56:57], v[63:64]
	v_fma_f64 v[63:64], v[58:59], s[20:21], v[63:64]
	v_add_f64_e32 v[16:17], v[65:66], v[16:17]
	s_delay_alu instid0(VALU_DEP_2) | instskip(SKIP_1) | instid1(VALU_DEP_1)
	v_add_f64_e32 v[14:15], v[63:64], v[14:15]
	v_mul_f64_e32 v[63:64], s[28:29], v[4:5]
	v_fma_f64 v[65:66], v[58:59], s[26:27], v[63:64]
	v_fma_f64 v[63:64], v[58:59], s[24:25], v[63:64]
	s_delay_alu instid0(VALU_DEP_2) | instskip(NEXT) | instid1(VALU_DEP_2)
	v_add_f64_e32 v[20:21], v[65:66], v[20:21]
	v_add_f64_e32 v[18:19], v[63:64], v[18:19]
	;; [unrolled: 13-line block ×3, first 2 shown]
	v_mul_f64_e32 v[63:64], s[18:19], v[4:5]
	v_mul_f64_e32 v[4:5], s[50:51], v[4:5]
	s_delay_alu instid0(VALU_DEP_2) | instskip(SKIP_1) | instid1(VALU_DEP_2)
	v_fma_f64 v[65:66], v[58:59], s[16:17], v[63:64]
	v_fma_f64 v[63:64], v[58:59], s[46:47], v[63:64]
	v_add_f64_e32 v[32:33], v[65:66], v[32:33]
	s_delay_alu instid0(VALU_DEP_2) | instskip(SKIP_3) | instid1(VALU_DEP_3)
	v_add_f64_e32 v[30:31], v[63:64], v[30:31]
	v_fma_f64 v[63:64], v[58:59], s[48:49], v[4:5]
	v_fma_f64 v[4:5], v[58:59], s[52:53], v[4:5]
	v_add_f64_e64 v[58:59], v[212:213], -v[148:149]
	v_add_f64_e32 v[34:35], v[63:64], v[34:35]
	s_delay_alu instid0(VALU_DEP_3) | instskip(SKIP_3) | instid1(VALU_DEP_1)
	v_add_f64_e32 v[2:3], v[4:5], v[2:3]
	v_add_f64_e32 v[4:5], v[77:78], v[142:143]
	scratch_load_b64 v[77:78], off, off offset:392 th:TH_LOAD_LU ; 8-byte Folded Reload
	v_mul_f64_e32 v[63:64], s[18:19], v[4:5]
	v_fma_f64 v[65:66], v[58:59], s[46:47], v[63:64]
	v_fma_f64 v[63:64], v[58:59], s[16:17], v[63:64]
	s_delay_alu instid0(VALU_DEP_2) | instskip(NEXT) | instid1(VALU_DEP_2)
	v_add_f64_e32 v[8:9], v[65:66], v[8:9]
	v_add_f64_e32 v[6:7], v[63:64], v[6:7]
	v_mul_f64_e32 v[63:64], s[22:23], v[4:5]
	s_delay_alu instid0(VALU_DEP_1) | instskip(SKIP_1) | instid1(VALU_DEP_2)
	v_fma_f64 v[65:66], v[58:59], s[56:57], v[63:64]
	v_fma_f64 v[63:64], v[58:59], s[20:21], v[63:64]
	v_add_f64_e32 v[12:13], v[65:66], v[12:13]
	s_delay_alu instid0(VALU_DEP_2) | instskip(SKIP_1) | instid1(VALU_DEP_1)
	v_add_f64_e32 v[10:11], v[63:64], v[10:11]
	v_mul_f64_e32 v[63:64], s[28:29], v[4:5]
	v_fma_f64 v[65:66], v[58:59], s[24:25], v[63:64]
	v_fma_f64 v[63:64], v[58:59], s[26:27], v[63:64]
	s_delay_alu instid0(VALU_DEP_2) | instskip(NEXT) | instid1(VALU_DEP_2)
	v_add_f64_e32 v[16:17], v[65:66], v[16:17]
	v_add_f64_e32 v[14:15], v[63:64], v[14:15]
	v_mul_f64_e32 v[63:64], s[36:37], v[4:5]
	s_delay_alu instid0(VALU_DEP_1) | instskip(SKIP_1) | instid1(VALU_DEP_2)
	v_fma_f64 v[65:66], v[58:59], s[30:31], v[63:64]
	v_fma_f64 v[63:64], v[58:59], s[34:35], v[63:64]
	v_add_f64_e32 v[20:21], v[65:66], v[20:21]
	s_delay_alu instid0(VALU_DEP_2) | instskip(SKIP_1) | instid1(VALU_DEP_1)
	v_add_f64_e32 v[18:19], v[63:64], v[18:19]
	v_mul_f64_e32 v[63:64], s[6:7], v[4:5]
	v_fma_f64 v[65:66], v[58:59], s[2:3], v[63:64]
	v_fma_f64 v[63:64], v[58:59], s[44:45], v[63:64]
	s_delay_alu instid0(VALU_DEP_2) | instskip(NEXT) | instid1(VALU_DEP_2)
	v_add_f64_e32 v[24:25], v[65:66], v[24:25]
	v_add_f64_e32 v[22:23], v[63:64], v[22:23]
	v_mul_f64_e32 v[63:64], s[50:51], v[4:5]
	s_delay_alu instid0(VALU_DEP_1) | instskip(SKIP_1) | instid1(VALU_DEP_2)
	v_fma_f64 v[65:66], v[58:59], s[52:53], v[63:64]
	v_fma_f64 v[63:64], v[58:59], s[48:49], v[63:64]
	v_add_f64_e32 v[28:29], v[65:66], v[28:29]
	s_delay_alu instid0(VALU_DEP_2) | instskip(SKIP_2) | instid1(VALU_DEP_2)
	v_add_f64_e32 v[26:27], v[63:64], v[26:27]
	v_mul_f64_e32 v[63:64], s[14:15], v[4:5]
	v_mul_f64_e32 v[4:5], s[40:41], v[4:5]
	v_fma_f64 v[65:66], v[58:59], s[54:55], v[63:64]
	v_fma_f64 v[63:64], v[58:59], s[12:13], v[63:64]
	s_delay_alu instid0(VALU_DEP_2) | instskip(NEXT) | instid1(VALU_DEP_2)
	v_add_f64_e32 v[32:33], v[65:66], v[32:33]
	v_add_f64_e32 v[30:31], v[63:64], v[30:31]
	v_fma_f64 v[63:64], v[58:59], s[42:43], v[4:5]
	v_fma_f64 v[4:5], v[58:59], s[38:39], v[4:5]
	v_add_f64_e64 v[58:59], v[39:40], -v[150:151]
	scratch_load_b64 v[38:39], off, off offset:568 th:TH_LOAD_LU ; 8-byte Folded Reload
	v_add_f64_e32 v[34:35], v[63:64], v[34:35]
	v_add_f64_e32 v[2:3], v[4:5], v[2:3]
	;; [unrolled: 1-line block ×3, first 2 shown]
	s_clause 0x1
	scratch_load_b64 v[79:80], off, off offset:480 th:TH_LOAD_LU
	scratch_load_b64 v[73:74], off, off offset:360 th:TH_LOAD_LU
	v_mul_f64_e32 v[63:64], s[14:15], v[4:5]
	s_delay_alu instid0(VALU_DEP_1) | instskip(SKIP_1) | instid1(VALU_DEP_2)
	v_fma_f64 v[65:66], v[58:59], s[54:55], v[63:64]
	v_fma_f64 v[63:64], v[58:59], s[12:13], v[63:64]
	v_add_f64_e32 v[8:9], v[65:66], v[8:9]
	s_delay_alu instid0(VALU_DEP_2) | instskip(SKIP_1) | instid1(VALU_DEP_1)
	v_add_f64_e32 v[6:7], v[63:64], v[6:7]
	v_mul_f64_e32 v[63:64], s[28:29], v[4:5]
	v_fma_f64 v[65:66], v[58:59], s[26:27], v[63:64]
	v_fma_f64 v[63:64], v[58:59], s[24:25], v[63:64]
	s_delay_alu instid0(VALU_DEP_2) | instskip(NEXT) | instid1(VALU_DEP_2)
	v_add_f64_e32 v[12:13], v[65:66], v[12:13]
	v_add_f64_e32 v[10:11], v[63:64], v[10:11]
	v_mul_f64_e32 v[63:64], s[36:37], v[4:5]
	s_delay_alu instid0(VALU_DEP_1) | instskip(SKIP_1) | instid1(VALU_DEP_2)
	v_fma_f64 v[65:66], v[58:59], s[30:31], v[63:64]
	v_fma_f64 v[63:64], v[58:59], s[34:35], v[63:64]
	v_add_f64_e32 v[16:17], v[65:66], v[16:17]
	s_delay_alu instid0(VALU_DEP_2) | instskip(SKIP_1) | instid1(VALU_DEP_1)
	v_add_f64_e32 v[14:15], v[63:64], v[14:15]
	v_mul_f64_e32 v[63:64], s[50:51], v[4:5]
	v_fma_f64 v[65:66], v[58:59], s[48:49], v[63:64]
	v_fma_f64 v[63:64], v[58:59], s[52:53], v[63:64]
	s_delay_alu instid0(VALU_DEP_2) | instskip(NEXT) | instid1(VALU_DEP_2)
	v_add_f64_e32 v[20:21], v[65:66], v[20:21]
	v_add_f64_e32 v[18:19], v[63:64], v[18:19]
	;; [unrolled: 13-line block ×3, first 2 shown]
	v_mul_f64_e32 v[63:64], s[22:23], v[4:5]
	v_mul_f64_e32 v[4:5], s[6:7], v[4:5]
	s_delay_alu instid0(VALU_DEP_2) | instskip(SKIP_1) | instid1(VALU_DEP_2)
	v_fma_f64 v[65:66], v[58:59], s[20:21], v[63:64]
	v_fma_f64 v[63:64], v[58:59], s[56:57], v[63:64]
	v_add_f64_e32 v[32:33], v[65:66], v[32:33]
	s_delay_alu instid0(VALU_DEP_2)
	v_add_f64_e32 v[30:31], v[63:64], v[30:31]
	v_fma_f64 v[63:64], v[58:59], s[2:3], v[4:5]
	v_fma_f64 v[4:5], v[58:59], s[44:45], v[4:5]
	s_wait_loadcnt 0x2
	v_add_f64_e64 v[58:59], v[38:39], -v[156:157]
	scratch_load_b64 v[38:39], off, off offset:536 th:TH_LOAD_LU ; 8-byte Folded Reload
	v_add_f64_e32 v[34:35], v[63:64], v[34:35]
	v_add_f64_e32 v[2:3], v[4:5], v[2:3]
	;; [unrolled: 1-line block ×3, first 2 shown]
	s_clause 0x1
	scratch_load_b64 v[69:70], off, off offset:344 th:TH_LOAD_LU
	scratch_load_b64 v[75:76], off, off offset:376 th:TH_LOAD_LU
	v_mul_f64_e32 v[63:64], s[36:37], v[4:5]
	s_delay_alu instid0(VALU_DEP_1) | instskip(SKIP_1) | instid1(VALU_DEP_2)
	v_fma_f64 v[65:66], v[58:59], s[34:35], v[63:64]
	v_fma_f64 v[63:64], v[58:59], s[30:31], v[63:64]
	v_add_f64_e32 v[8:9], v[65:66], v[8:9]
	s_delay_alu instid0(VALU_DEP_2) | instskip(SKIP_1) | instid1(VALU_DEP_1)
	v_add_f64_e32 v[6:7], v[63:64], v[6:7]
	v_mul_f64_e32 v[63:64], s[40:41], v[4:5]
	v_fma_f64 v[65:66], v[58:59], s[38:39], v[63:64]
	v_fma_f64 v[63:64], v[58:59], s[42:43], v[63:64]
	s_delay_alu instid0(VALU_DEP_2) | instskip(NEXT) | instid1(VALU_DEP_2)
	v_add_f64_e32 v[12:13], v[65:66], v[12:13]
	v_add_f64_e32 v[10:11], v[63:64], v[10:11]
	v_mul_f64_e32 v[63:64], s[6:7], v[4:5]
	s_delay_alu instid0(VALU_DEP_1) | instskip(SKIP_1) | instid1(VALU_DEP_2)
	v_fma_f64 v[65:66], v[58:59], s[2:3], v[63:64]
	v_fma_f64 v[63:64], v[58:59], s[44:45], v[63:64]
	v_add_f64_e32 v[16:17], v[65:66], v[16:17]
	s_delay_alu instid0(VALU_DEP_2) | instskip(SKIP_1) | instid1(VALU_DEP_1)
	v_add_f64_e32 v[14:15], v[63:64], v[14:15]
	v_mul_f64_e32 v[63:64], s[18:19], v[4:5]
	v_fma_f64 v[65:66], v[58:59], s[46:47], v[63:64]
	v_fma_f64 v[63:64], v[58:59], s[16:17], v[63:64]
	s_delay_alu instid0(VALU_DEP_2) | instskip(NEXT) | instid1(VALU_DEP_2)
	v_add_f64_e32 v[20:21], v[65:66], v[20:21]
	v_add_f64_e32 v[18:19], v[63:64], v[18:19]
	;; [unrolled: 13-line block ×3, first 2 shown]
	v_mul_f64_e32 v[63:64], s[50:51], v[4:5]
	v_mul_f64_e32 v[4:5], s[22:23], v[4:5]
	s_delay_alu instid0(VALU_DEP_2) | instskip(SKIP_1) | instid1(VALU_DEP_2)
	v_fma_f64 v[65:66], v[58:59], s[52:53], v[63:64]
	v_fma_f64 v[63:64], v[58:59], s[48:49], v[63:64]
	v_add_f64_e32 v[32:33], v[65:66], v[32:33]
	s_delay_alu instid0(VALU_DEP_2) | instskip(SKIP_4) | instid1(VALU_DEP_3)
	v_add_f64_e32 v[30:31], v[63:64], v[30:31]
	v_fma_f64 v[63:64], v[58:59], s[56:57], v[4:5]
	v_fma_f64 v[4:5], v[58:59], s[20:21], v[4:5]
	s_wait_loadcnt 0x2
	v_add_f64_e64 v[58:59], v[38:39], -v[244:245]
	v_add_f64_e32 v[34:35], v[63:64], v[34:35]
	s_delay_alu instid0(VALU_DEP_3) | instskip(SKIP_3) | instid1(VALU_DEP_1)
	v_add_f64_e32 v[2:3], v[4:5], v[2:3]
	v_add_f64_e32 v[4:5], v[67:68], v[71:72]
	scratch_load_b64 v[71:72], off, off offset:40 th:TH_LOAD_LU ; 8-byte Folded Reload
	v_mul_f64_e32 v[63:64], s[22:23], v[4:5]
	v_fma_f64 v[65:66], v[58:59], s[56:57], v[63:64]
	v_fma_f64 v[63:64], v[58:59], s[20:21], v[63:64]
	s_delay_alu instid0(VALU_DEP_2) | instskip(NEXT) | instid1(VALU_DEP_2)
	v_add_f64_e32 v[8:9], v[65:66], v[8:9]
	v_add_f64_e32 v[6:7], v[63:64], v[6:7]
	v_mul_f64_e32 v[63:64], s[36:37], v[4:5]
	s_delay_alu instid0(VALU_DEP_1) | instskip(SKIP_1) | instid1(VALU_DEP_2)
	v_fma_f64 v[65:66], v[58:59], s[30:31], v[63:64]
	v_fma_f64 v[63:64], v[58:59], s[34:35], v[63:64]
	v_add_f64_e32 v[12:13], v[65:66], v[12:13]
	s_delay_alu instid0(VALU_DEP_2) | instskip(SKIP_1) | instid1(VALU_DEP_1)
	v_add_f64_e32 v[10:11], v[63:64], v[10:11]
	v_mul_f64_e32 v[63:64], s[50:51], v[4:5]
	v_fma_f64 v[65:66], v[58:59], s[52:53], v[63:64]
	v_fma_f64 v[63:64], v[58:59], s[48:49], v[63:64]
	s_delay_alu instid0(VALU_DEP_2) | instskip(NEXT) | instid1(VALU_DEP_2)
	v_add_f64_e32 v[16:17], v[65:66], v[16:17]
	v_add_f64_e32 v[14:15], v[63:64], v[14:15]
	v_mul_f64_e32 v[63:64], s[40:41], v[4:5]
	s_delay_alu instid0(VALU_DEP_1) | instskip(SKIP_1) | instid1(VALU_DEP_2)
	v_fma_f64 v[65:66], v[58:59], s[42:43], v[63:64]
	v_fma_f64 v[63:64], v[58:59], s[38:39], v[63:64]
	v_add_f64_e32 v[20:21], v[65:66], v[20:21]
	s_delay_alu instid0(VALU_DEP_2) | instskip(SKIP_1) | instid1(VALU_DEP_1)
	v_add_f64_e32 v[18:19], v[63:64], v[18:19]
	v_mul_f64_e32 v[63:64], s[14:15], v[4:5]
	v_fma_f64 v[65:66], v[58:59], s[12:13], v[63:64]
	v_fma_f64 v[63:64], v[58:59], s[54:55], v[63:64]
	s_delay_alu instid0(VALU_DEP_2) | instskip(NEXT) | instid1(VALU_DEP_2)
	v_add_f64_e32 v[24:25], v[65:66], v[24:25]
	v_add_f64_e32 v[22:23], v[63:64], v[22:23]
	v_mul_f64_e32 v[63:64], s[6:7], v[4:5]
	s_delay_alu instid0(VALU_DEP_1) | instskip(SKIP_1) | instid1(VALU_DEP_2)
	v_fma_f64 v[65:66], v[58:59], s[44:45], v[63:64]
	v_fma_f64 v[63:64], v[58:59], s[2:3], v[63:64]
	v_add_f64_e32 v[28:29], v[65:66], v[28:29]
	s_delay_alu instid0(VALU_DEP_2) | instskip(SKIP_2) | instid1(VALU_DEP_2)
	v_add_f64_e32 v[26:27], v[63:64], v[26:27]
	v_mul_f64_e32 v[63:64], s[28:29], v[4:5]
	v_mul_f64_e32 v[4:5], s[18:19], v[4:5]
	v_fma_f64 v[65:66], v[58:59], s[26:27], v[63:64]
	v_fma_f64 v[63:64], v[58:59], s[24:25], v[63:64]
	s_delay_alu instid0(VALU_DEP_2) | instskip(NEXT) | instid1(VALU_DEP_2)
	v_add_f64_e32 v[32:33], v[65:66], v[32:33]
	v_add_f64_e32 v[30:31], v[63:64], v[30:31]
	v_fma_f64 v[63:64], v[58:59], s[16:17], v[4:5]
	v_fma_f64 v[4:5], v[58:59], s[46:47], v[4:5]
	s_delay_alu instid0(VALU_DEP_2) | instskip(NEXT) | instid1(VALU_DEP_2)
	v_add_f64_e32 v[34:35], v[63:64], v[34:35]
	v_add_f64_e32 v[2:3], v[4:5], v[2:3]
	;; [unrolled: 1-line block ×3, first 2 shown]
	s_clause 0x1
	scratch_load_b64 v[48:49], off, off offset:496 th:TH_LOAD_LU
	scratch_load_b64 v[60:61], off, off offset:408 th:TH_LOAD_LU
	v_mul_f64_e32 v[63:64], s[40:41], v[4:5]
	s_wait_loadcnt 0x1
	v_add_f64_e64 v[58:59], v[48:49], -v[238:239]
	scratch_load_b64 v[48:49], off, off offset:448 th:TH_LOAD_LU ; 8-byte Folded Reload
	v_fma_f64 v[65:66], v[58:59], s[42:43], v[63:64]
	v_fma_f64 v[63:64], v[58:59], s[38:39], v[63:64]
	s_delay_alu instid0(VALU_DEP_2) | instskip(NEXT) | instid1(VALU_DEP_2)
	v_add_f64_e32 v[8:9], v[65:66], v[8:9]
	v_add_f64_e32 v[6:7], v[63:64], v[6:7]
	v_mul_f64_e32 v[63:64], s[18:19], v[4:5]
	s_delay_alu instid0(VALU_DEP_1) | instskip(SKIP_1) | instid1(VALU_DEP_2)
	v_fma_f64 v[65:66], v[58:59], s[16:17], v[63:64]
	v_fma_f64 v[63:64], v[58:59], s[46:47], v[63:64]
	v_add_f64_e32 v[12:13], v[65:66], v[12:13]
	s_delay_alu instid0(VALU_DEP_2) | instskip(SKIP_1) | instid1(VALU_DEP_1)
	v_add_f64_e32 v[10:11], v[63:64], v[10:11]
	v_mul_f64_e32 v[63:64], s[14:15], v[4:5]
	v_fma_f64 v[65:66], v[58:59], s[54:55], v[63:64]
	v_fma_f64 v[63:64], v[58:59], s[12:13], v[63:64]
	s_delay_alu instid0(VALU_DEP_2) | instskip(NEXT) | instid1(VALU_DEP_2)
	v_add_f64_e32 v[16:17], v[65:66], v[16:17]
	v_add_f64_e32 v[14:15], v[63:64], v[14:15]
	v_mul_f64_e32 v[63:64], s[22:23], v[4:5]
	s_delay_alu instid0(VALU_DEP_1) | instskip(SKIP_1) | instid1(VALU_DEP_2)
	v_fma_f64 v[65:66], v[58:59], s[20:21], v[63:64]
	v_fma_f64 v[63:64], v[58:59], s[56:57], v[63:64]
	v_add_f64_e32 v[20:21], v[65:66], v[20:21]
	s_delay_alu instid0(VALU_DEP_2) | instskip(SKIP_1) | instid1(VALU_DEP_1)
	v_add_f64_e32 v[18:19], v[63:64], v[18:19]
	v_mul_f64_e32 v[63:64], s[50:51], v[4:5]
	v_fma_f64 v[65:66], v[58:59], s[52:53], v[63:64]
	v_fma_f64 v[63:64], v[58:59], s[48:49], v[63:64]
	s_delay_alu instid0(VALU_DEP_2) | instskip(NEXT) | instid1(VALU_DEP_2)
	v_add_f64_e32 v[24:25], v[65:66], v[24:25]
	v_add_f64_e32 v[22:23], v[63:64], v[22:23]
	v_mul_f64_e32 v[63:64], s[28:29], v[4:5]
	s_delay_alu instid0(VALU_DEP_1) | instskip(SKIP_1) | instid1(VALU_DEP_2)
	v_fma_f64 v[65:66], v[58:59], s[26:27], v[63:64]
	v_fma_f64 v[63:64], v[58:59], s[24:25], v[63:64]
	v_add_f64_e32 v[28:29], v[65:66], v[28:29]
	s_delay_alu instid0(VALU_DEP_2) | instskip(SKIP_2) | instid1(VALU_DEP_2)
	v_add_f64_e32 v[26:27], v[63:64], v[26:27]
	v_mul_f64_e32 v[63:64], s[6:7], v[4:5]
	v_mul_f64_e32 v[4:5], s[36:37], v[4:5]
	v_fma_f64 v[65:66], v[58:59], s[2:3], v[63:64]
	v_fma_f64 v[63:64], v[58:59], s[44:45], v[63:64]
	s_delay_alu instid0(VALU_DEP_2) | instskip(NEXT) | instid1(VALU_DEP_2)
	v_add_f64_e32 v[32:33], v[65:66], v[32:33]
	v_add_f64_e32 v[30:31], v[63:64], v[30:31]
	v_fma_f64 v[63:64], v[58:59], s[34:35], v[4:5]
	v_fma_f64 v[4:5], v[58:59], s[30:31], v[4:5]
	s_delay_alu instid0(VALU_DEP_2) | instskip(NEXT) | instid1(VALU_DEP_2)
	v_add_f64_e32 v[34:35], v[63:64], v[34:35]
	v_add_f64_e32 v[2:3], v[4:5], v[2:3]
	;; [unrolled: 1-line block ×3, first 2 shown]
	s_clause 0x1
	scratch_load_b64 v[44:45], off, off offset:472 th:TH_LOAD_LU
	scratch_load_b64 v[54:55], off, off offset:424 th:TH_LOAD_LU
	v_mul_f64_e32 v[63:64], s[28:29], v[4:5]
	s_wait_loadcnt 0x1
	v_add_f64_e64 v[58:59], v[44:45], -v[98:99]
	scratch_load_b64 v[44:45], off, off offset:464 th:TH_LOAD_LU ; 8-byte Folded Reload
	v_fma_f64 v[65:66], v[58:59], s[26:27], v[63:64]
	s_delay_alu instid0(VALU_DEP_1)
	v_add_f64_e32 v[218:219], v[65:66], v[8:9]
	v_fma_f64 v[8:9], v[58:59], s[24:25], v[63:64]
	s_clause 0x1
	scratch_load_b64 v[63:64], off, off offset:24 th:TH_LOAD_LU
	scratch_load_b64 v[65:66], off, off offset:328 th:TH_LOAD_LU
	v_add_f64_e32 v[152:153], v[8:9], v[6:7]
	v_mul_f64_e32 v[6:7], s[50:51], v[4:5]
	s_delay_alu instid0(VALU_DEP_1) | instskip(SKIP_1) | instid1(VALU_DEP_2)
	v_fma_f64 v[8:9], v[58:59], s[48:49], v[6:7]
	v_fma_f64 v[6:7], v[58:59], s[52:53], v[6:7]
	v_add_f64_e32 v[224:225], v[8:9], v[12:13]
	s_delay_alu instid0(VALU_DEP_2) | instskip(SKIP_1) | instid1(VALU_DEP_1)
	v_add_f64_e32 v[198:199], v[6:7], v[10:11]
	v_mul_f64_e32 v[6:7], s[40:41], v[4:5]
	v_fma_f64 v[8:9], v[58:59], s[42:43], v[6:7]
	v_fma_f64 v[6:7], v[58:59], s[38:39], v[6:7]
	s_delay_alu instid0(VALU_DEP_2) | instskip(NEXT) | instid1(VALU_DEP_2)
	v_add_f64_e32 v[226:227], v[8:9], v[16:17]
	v_add_f64_e32 v[200:201], v[6:7], v[14:15]
	v_mul_f64_e32 v[6:7], s[6:7], v[4:5]
	s_delay_alu instid0(VALU_DEP_1) | instskip(SKIP_1) | instid1(VALU_DEP_2)
	v_fma_f64 v[8:9], v[58:59], s[2:3], v[6:7]
	v_fma_f64 v[6:7], v[58:59], s[44:45], v[6:7]
	v_add_f64_e32 v[220:221], v[8:9], v[20:21]
	s_delay_alu instid0(VALU_DEP_2) | instskip(SKIP_1) | instid1(VALU_DEP_1)
	v_add_f64_e32 v[202:203], v[6:7], v[18:19]
	v_mul_f64_e32 v[6:7], s[22:23], v[4:5]
	v_fma_f64 v[8:9], v[58:59], s[56:57], v[6:7]
	v_fma_f64 v[6:7], v[58:59], s[20:21], v[6:7]
	s_delay_alu instid0(VALU_DEP_2) | instskip(NEXT) | instid1(VALU_DEP_2)
	v_add_f64_e32 v[222:223], v[8:9], v[24:25]
	v_add_f64_e32 v[204:205], v[6:7], v[22:23]
	v_mul_f64_e32 v[6:7], s[18:19], v[4:5]
	s_delay_alu instid0(VALU_DEP_1) | instskip(SKIP_1) | instid1(VALU_DEP_2)
	v_fma_f64 v[8:9], v[58:59], s[16:17], v[6:7]
	v_fma_f64 v[6:7], v[58:59], s[46:47], v[6:7]
	v_add_f64_e32 v[214:215], v[8:9], v[28:29]
	s_delay_alu instid0(VALU_DEP_2) | instskip(SKIP_2) | instid1(VALU_DEP_2)
	v_add_f64_e32 v[206:207], v[6:7], v[26:27]
	v_mul_f64_e32 v[6:7], s[36:37], v[4:5]
	v_mul_f64_e32 v[4:5], s[14:15], v[4:5]
	v_fma_f64 v[8:9], v[58:59], s[34:35], v[6:7]
	v_fma_f64 v[6:7], v[58:59], s[30:31], v[6:7]
	s_delay_alu instid0(VALU_DEP_2) | instskip(NEXT) | instid1(VALU_DEP_2)
	v_add_f64_e32 v[216:217], v[8:9], v[32:33]
	v_add_f64_e32 v[208:209], v[6:7], v[30:31]
	v_fma_f64 v[6:7], v[58:59], s[12:13], v[4:5]
	v_fma_f64 v[4:5], v[58:59], s[54:55], v[4:5]
	s_clause 0x1
	scratch_load_b64 v[58:59], off, off offset:320 th:TH_LOAD_LU
	scratch_load_b64 v[67:68], off, off offset:32 th:TH_LOAD_LU
	v_add_f64_e32 v[210:211], v[6:7], v[34:35]
	v_add_f64_e32 v[212:213], v[4:5], v[2:3]
	scratch_load_b64 v[4:5], off, off offset:368 th:TH_LOAD_LU ; 8-byte Folded Reload
	s_wait_loadcnt 0x0
	v_add_f64_e32 v[2:3], v[52:53], v[4:5]
	s_delay_alu instid0(VALU_DEP_1) | instskip(NEXT) | instid1(VALU_DEP_1)
	v_add_f64_e32 v[2:3], v[2:3], v[71:72]
	v_add_f64_e32 v[2:3], v[2:3], v[67:68]
	s_delay_alu instid0(VALU_DEP_1) | instskip(NEXT) | instid1(VALU_DEP_1)
	v_add_f64_e32 v[2:3], v[2:3], v[63:64]
	;; [unrolled: 3-line block ×7, first 2 shown]
	v_add_f64_e32 v[2:3], v[2:3], v[79:80]
	s_delay_alu instid0(VALU_DEP_1) | instskip(SKIP_3) | instid1(VALU_DEP_3)
	v_add_f64_e32 v[168:169], v[2:3], v[36:37]
	v_add_f64_e32 v[2:3], v[4:5], v[36:37]
	v_add_f64_e64 v[4:5], v[242:243], -v[240:241]
	v_add_f64_e64 v[36:37], v[46:47], -v[102:103]
	v_mul_f64_e32 v[6:7], s[50:51], v[2:3]
	v_mul_f64_e32 v[10:11], s[6:7], v[2:3]
	;; [unrolled: 1-line block ×8, first 2 shown]
	v_fma_f64 v[8:9], v[4:5], s[52:53], v[6:7]
	v_fma_f64 v[6:7], v[4:5], s[48:49], v[6:7]
	;; [unrolled: 1-line block ×16, first 2 shown]
	v_add_f64_e32 v[4:5], v[71:72], v[79:80]
	v_add_f64_e32 v[8:9], v[52:53], v[8:9]
	;; [unrolled: 1-line block ×17, first 2 shown]
	v_mul_f64_e32 v[38:39], s[6:7], v[4:5]
	s_delay_alu instid0(VALU_DEP_1) | instskip(SKIP_1) | instid1(VALU_DEP_2)
	v_fma_f64 v[40:41], v[36:37], s[44:45], v[38:39]
	v_fma_f64 v[38:39], v[36:37], s[2:3], v[38:39]
	v_add_f64_e32 v[8:9], v[40:41], v[8:9]
	s_delay_alu instid0(VALU_DEP_2) | instskip(SKIP_1) | instid1(VALU_DEP_1)
	v_add_f64_e32 v[6:7], v[38:39], v[6:7]
	v_mul_f64_e32 v[38:39], s[14:15], v[4:5]
	v_fma_f64 v[40:41], v[36:37], s[54:55], v[38:39]
	v_fma_f64 v[38:39], v[36:37], s[12:13], v[38:39]
	s_delay_alu instid0(VALU_DEP_2) | instskip(NEXT) | instid1(VALU_DEP_2)
	v_add_f64_e32 v[12:13], v[40:41], v[12:13]
	v_add_f64_e32 v[10:11], v[38:39], v[10:11]
	v_mul_f64_e32 v[38:39], s[22:23], v[4:5]
	s_delay_alu instid0(VALU_DEP_1) | instskip(SKIP_1) | instid1(VALU_DEP_2)
	v_fma_f64 v[40:41], v[36:37], s[56:57], v[38:39]
	v_fma_f64 v[38:39], v[36:37], s[20:21], v[38:39]
	v_add_f64_e32 v[16:17], v[40:41], v[16:17]
	s_delay_alu instid0(VALU_DEP_2) | instskip(SKIP_1) | instid1(VALU_DEP_1)
	v_add_f64_e32 v[14:15], v[38:39], v[14:15]
	v_mul_f64_e32 v[38:39], s[28:29], v[4:5]
	v_fma_f64 v[40:41], v[36:37], s[26:27], v[38:39]
	v_fma_f64 v[38:39], v[36:37], s[24:25], v[38:39]
	s_delay_alu instid0(VALU_DEP_2) | instskip(NEXT) | instid1(VALU_DEP_2)
	v_add_f64_e32 v[20:21], v[40:41], v[20:21]
	v_add_f64_e32 v[18:19], v[38:39], v[18:19]
	;; [unrolled: 13-line block ×3, first 2 shown]
	v_mul_f64_e32 v[38:39], s[18:19], v[4:5]
	v_mul_f64_e32 v[4:5], s[50:51], v[4:5]
	s_delay_alu instid0(VALU_DEP_2) | instskip(SKIP_1) | instid1(VALU_DEP_2)
	v_fma_f64 v[40:41], v[36:37], s[16:17], v[38:39]
	v_fma_f64 v[38:39], v[36:37], s[46:47], v[38:39]
	v_add_f64_e32 v[32:33], v[40:41], v[32:33]
	s_delay_alu instid0(VALU_DEP_2) | instskip(SKIP_3) | instid1(VALU_DEP_3)
	v_add_f64_e32 v[30:31], v[38:39], v[30:31]
	v_fma_f64 v[38:39], v[36:37], s[48:49], v[4:5]
	v_fma_f64 v[4:5], v[36:37], s[52:53], v[4:5]
	v_add_f64_e64 v[36:37], v[56:57], -v[50:51]
	v_add_f64_e32 v[34:35], v[38:39], v[34:35]
	s_delay_alu instid0(VALU_DEP_3) | instskip(SKIP_1) | instid1(VALU_DEP_1)
	v_add_f64_e32 v[2:3], v[4:5], v[2:3]
	v_add_f64_e32 v[4:5], v[67:68], v[44:45]
	v_mul_f64_e32 v[38:39], s[18:19], v[4:5]
	s_delay_alu instid0(VALU_DEP_1) | instskip(SKIP_1) | instid1(VALU_DEP_2)
	v_fma_f64 v[40:41], v[36:37], s[46:47], v[38:39]
	v_fma_f64 v[38:39], v[36:37], s[16:17], v[38:39]
	v_add_f64_e32 v[8:9], v[40:41], v[8:9]
	s_delay_alu instid0(VALU_DEP_2) | instskip(SKIP_1) | instid1(VALU_DEP_1)
	v_add_f64_e32 v[6:7], v[38:39], v[6:7]
	v_mul_f64_e32 v[38:39], s[22:23], v[4:5]
	v_fma_f64 v[40:41], v[36:37], s[56:57], v[38:39]
	v_fma_f64 v[38:39], v[36:37], s[20:21], v[38:39]
	s_delay_alu instid0(VALU_DEP_2) | instskip(NEXT) | instid1(VALU_DEP_2)
	v_add_f64_e32 v[12:13], v[40:41], v[12:13]
	v_add_f64_e32 v[10:11], v[38:39], v[10:11]
	v_mul_f64_e32 v[38:39], s[28:29], v[4:5]
	s_delay_alu instid0(VALU_DEP_1) | instskip(SKIP_1) | instid1(VALU_DEP_2)
	v_fma_f64 v[40:41], v[36:37], s[24:25], v[38:39]
	v_fma_f64 v[38:39], v[36:37], s[26:27], v[38:39]
	v_add_f64_e32 v[16:17], v[40:41], v[16:17]
	s_delay_alu instid0(VALU_DEP_2) | instskip(SKIP_1) | instid1(VALU_DEP_1)
	v_add_f64_e32 v[14:15], v[38:39], v[14:15]
	v_mul_f64_e32 v[38:39], s[36:37], v[4:5]
	v_fma_f64 v[40:41], v[36:37], s[30:31], v[38:39]
	v_fma_f64 v[38:39], v[36:37], s[34:35], v[38:39]
	s_delay_alu instid0(VALU_DEP_2) | instskip(NEXT) | instid1(VALU_DEP_2)
	;; [unrolled: 13-line block ×3, first 2 shown]
	v_add_f64_e32 v[28:29], v[40:41], v[28:29]
	v_add_f64_e32 v[26:27], v[38:39], v[26:27]
	v_mul_f64_e32 v[38:39], s[14:15], v[4:5]
	v_mul_f64_e32 v[4:5], s[40:41], v[4:5]
	s_delay_alu instid0(VALU_DEP_2) | instskip(SKIP_1) | instid1(VALU_DEP_2)
	v_fma_f64 v[40:41], v[36:37], s[54:55], v[38:39]
	v_fma_f64 v[38:39], v[36:37], s[12:13], v[38:39]
	v_add_f64_e32 v[32:33], v[40:41], v[32:33]
	s_delay_alu instid0(VALU_DEP_2)
	v_add_f64_e32 v[30:31], v[38:39], v[30:31]
	v_fma_f64 v[38:39], v[36:37], s[42:43], v[4:5]
	v_fma_f64 v[4:5], v[36:37], s[38:39], v[4:5]
	scratch_load_b64 v[36:37], off, off offset:456 th:TH_LOAD_LU ; 8-byte Folded Reload
	v_add_f64_e32 v[34:35], v[38:39], v[34:35]
	v_add_f64_e32 v[2:3], v[4:5], v[2:3]
	v_add_f64_e32 v[4:5], v[63:64], v[48:49]
	s_delay_alu instid0(VALU_DEP_1) | instskip(SKIP_2) | instid1(VALU_DEP_1)
	v_mul_f64_e32 v[38:39], s[14:15], v[4:5]
	s_wait_loadcnt 0x0
	v_add_f64_e64 v[36:37], v[36:37], -v[42:43]
	v_fma_f64 v[40:41], v[36:37], s[54:55], v[38:39]
	v_fma_f64 v[38:39], v[36:37], s[12:13], v[38:39]
	s_delay_alu instid0(VALU_DEP_2) | instskip(NEXT) | instid1(VALU_DEP_2)
	v_add_f64_e32 v[8:9], v[40:41], v[8:9]
	v_add_f64_e32 v[6:7], v[38:39], v[6:7]
	v_mul_f64_e32 v[38:39], s[28:29], v[4:5]
	s_delay_alu instid0(VALU_DEP_1) | instskip(SKIP_1) | instid1(VALU_DEP_2)
	v_fma_f64 v[40:41], v[36:37], s[26:27], v[38:39]
	v_fma_f64 v[38:39], v[36:37], s[24:25], v[38:39]
	v_add_f64_e32 v[12:13], v[40:41], v[12:13]
	s_delay_alu instid0(VALU_DEP_2) | instskip(SKIP_1) | instid1(VALU_DEP_1)
	v_add_f64_e32 v[10:11], v[38:39], v[10:11]
	v_mul_f64_e32 v[38:39], s[36:37], v[4:5]
	v_fma_f64 v[40:41], v[36:37], s[30:31], v[38:39]
	v_fma_f64 v[38:39], v[36:37], s[34:35], v[38:39]
	s_delay_alu instid0(VALU_DEP_2) | instskip(NEXT) | instid1(VALU_DEP_2)
	v_add_f64_e32 v[16:17], v[40:41], v[16:17]
	v_add_f64_e32 v[14:15], v[38:39], v[14:15]
	v_mul_f64_e32 v[38:39], s[50:51], v[4:5]
	s_delay_alu instid0(VALU_DEP_1) | instskip(SKIP_1) | instid1(VALU_DEP_2)
	v_fma_f64 v[40:41], v[36:37], s[48:49], v[38:39]
	v_fma_f64 v[38:39], v[36:37], s[52:53], v[38:39]
	v_add_f64_e32 v[20:21], v[40:41], v[20:21]
	s_delay_alu instid0(VALU_DEP_2) | instskip(SKIP_1) | instid1(VALU_DEP_1)
	v_add_f64_e32 v[18:19], v[38:39], v[18:19]
	v_mul_f64_e32 v[38:39], s[18:19], v[4:5]
	v_fma_f64 v[40:41], v[36:37], s[46:47], v[38:39]
	v_fma_f64 v[38:39], v[36:37], s[16:17], v[38:39]
	s_delay_alu instid0(VALU_DEP_2) | instskip(NEXT) | instid1(VALU_DEP_2)
	v_add_f64_e32 v[24:25], v[40:41], v[24:25]
	v_add_f64_e32 v[22:23], v[38:39], v[22:23]
	v_mul_f64_e32 v[38:39], s[40:41], v[4:5]
	s_delay_alu instid0(VALU_DEP_1) | instskip(SKIP_1) | instid1(VALU_DEP_2)
	v_fma_f64 v[40:41], v[36:37], s[42:43], v[38:39]
	v_fma_f64 v[38:39], v[36:37], s[38:39], v[38:39]
	v_add_f64_e32 v[28:29], v[40:41], v[28:29]
	s_delay_alu instid0(VALU_DEP_2) | instskip(SKIP_2) | instid1(VALU_DEP_2)
	v_add_f64_e32 v[26:27], v[38:39], v[26:27]
	v_mul_f64_e32 v[38:39], s[22:23], v[4:5]
	v_mul_f64_e32 v[4:5], s[6:7], v[4:5]
	v_fma_f64 v[40:41], v[36:37], s[20:21], v[38:39]
	v_fma_f64 v[38:39], v[36:37], s[56:57], v[38:39]
	s_delay_alu instid0(VALU_DEP_2) | instskip(NEXT) | instid1(VALU_DEP_2)
	v_add_f64_e32 v[32:33], v[40:41], v[32:33]
	v_add_f64_e32 v[30:31], v[38:39], v[30:31]
	v_fma_f64 v[38:39], v[36:37], s[2:3], v[4:5]
	v_fma_f64 v[4:5], v[36:37], s[44:45], v[4:5]
	s_delay_alu instid0(VALU_DEP_2)
	v_add_f64_e32 v[34:35], v[38:39], v[34:35]
	s_clause 0x1
	scratch_load_b64 v[36:37], off, off offset:432 th:TH_LOAD_LU
	scratch_load_b64 v[38:39], off, off offset:440 th:TH_LOAD_LU
	v_add_f64_e32 v[2:3], v[4:5], v[2:3]
	v_add_f64_e32 v[4:5], v[73:74], v[54:55]
	v_add_nc_u32_e32 v54, 0x800, v237
	v_add_nc_u32_e32 v55, 0x1000, v237
	s_wait_loadcnt 0x0
	v_add_f64_e64 v[36:37], v[36:37], -v[38:39]
	s_delay_alu instid0(VALU_DEP_4) | instskip(NEXT) | instid1(VALU_DEP_1)
	v_mul_f64_e32 v[38:39], s[36:37], v[4:5]
	v_fma_f64 v[40:41], v[36:37], s[34:35], v[38:39]
	v_fma_f64 v[38:39], v[36:37], s[30:31], v[38:39]
	s_delay_alu instid0(VALU_DEP_2) | instskip(NEXT) | instid1(VALU_DEP_2)
	v_add_f64_e32 v[8:9], v[40:41], v[8:9]
	v_add_f64_e32 v[6:7], v[38:39], v[6:7]
	v_mul_f64_e32 v[38:39], s[40:41], v[4:5]
	s_delay_alu instid0(VALU_DEP_1) | instskip(SKIP_1) | instid1(VALU_DEP_2)
	v_fma_f64 v[40:41], v[36:37], s[38:39], v[38:39]
	v_fma_f64 v[38:39], v[36:37], s[42:43], v[38:39]
	v_add_f64_e32 v[12:13], v[40:41], v[12:13]
	s_delay_alu instid0(VALU_DEP_2) | instskip(SKIP_1) | instid1(VALU_DEP_1)
	v_add_f64_e32 v[10:11], v[38:39], v[10:11]
	v_mul_f64_e32 v[38:39], s[6:7], v[4:5]
	v_fma_f64 v[40:41], v[36:37], s[2:3], v[38:39]
	v_fma_f64 v[38:39], v[36:37], s[44:45], v[38:39]
	s_delay_alu instid0(VALU_DEP_2) | instskip(NEXT) | instid1(VALU_DEP_2)
	v_add_f64_e32 v[16:17], v[40:41], v[16:17]
	v_add_f64_e32 v[14:15], v[38:39], v[14:15]
	v_mul_f64_e32 v[38:39], s[18:19], v[4:5]
	s_delay_alu instid0(VALU_DEP_1) | instskip(SKIP_1) | instid1(VALU_DEP_2)
	v_fma_f64 v[40:41], v[36:37], s[46:47], v[38:39]
	v_fma_f64 v[38:39], v[36:37], s[16:17], v[38:39]
	v_add_f64_e32 v[20:21], v[40:41], v[20:21]
	s_delay_alu instid0(VALU_DEP_2) | instskip(SKIP_1) | instid1(VALU_DEP_1)
	v_add_f64_e32 v[18:19], v[38:39], v[18:19]
	v_mul_f64_e32 v[38:39], s[28:29], v[4:5]
	v_fma_f64 v[40:41], v[36:37], s[26:27], v[38:39]
	v_fma_f64 v[38:39], v[36:37], s[24:25], v[38:39]
	s_delay_alu instid0(VALU_DEP_2) | instskip(NEXT) | instid1(VALU_DEP_2)
	v_add_f64_e32 v[24:25], v[40:41], v[24:25]
	v_add_f64_e32 v[22:23], v[38:39], v[22:23]
	v_mul_f64_e32 v[38:39], s[14:15], v[4:5]
	s_delay_alu instid0(VALU_DEP_1) | instskip(SKIP_1) | instid1(VALU_DEP_2)
	v_fma_f64 v[40:41], v[36:37], s[12:13], v[38:39]
	v_fma_f64 v[38:39], v[36:37], s[54:55], v[38:39]
	v_add_f64_e32 v[28:29], v[40:41], v[28:29]
	s_delay_alu instid0(VALU_DEP_2) | instskip(SKIP_2) | instid1(VALU_DEP_2)
	v_add_f64_e32 v[26:27], v[38:39], v[26:27]
	v_mul_f64_e32 v[38:39], s[50:51], v[4:5]
	v_mul_f64_e32 v[4:5], s[22:23], v[4:5]
	v_fma_f64 v[40:41], v[36:37], s[52:53], v[38:39]
	v_fma_f64 v[38:39], v[36:37], s[48:49], v[38:39]
	s_delay_alu instid0(VALU_DEP_2) | instskip(NEXT) | instid1(VALU_DEP_2)
	v_add_f64_e32 v[32:33], v[40:41], v[32:33]
	v_add_f64_e32 v[30:31], v[38:39], v[30:31]
	v_fma_f64 v[38:39], v[36:37], s[56:57], v[4:5]
	v_fma_f64 v[4:5], v[36:37], s[20:21], v[4:5]
	s_delay_alu instid0(VALU_DEP_2)
	v_add_f64_e32 v[34:35], v[38:39], v[34:35]
	s_clause 0x1
	scratch_load_b64 v[36:37], off, off offset:400 th:TH_LOAD_LU
	scratch_load_b64 v[38:39], off, off offset:416 th:TH_LOAD_LU
	v_add_f64_e32 v[2:3], v[4:5], v[2:3]
	v_add_f64_e32 v[4:5], v[69:70], v[60:61]
	s_wait_loadcnt 0x0
	v_add_f64_e64 v[36:37], v[36:37], -v[38:39]
	s_delay_alu instid0(VALU_DEP_2) | instskip(NEXT) | instid1(VALU_DEP_1)
	v_mul_f64_e32 v[38:39], s[22:23], v[4:5]
	v_fma_f64 v[40:41], v[36:37], s[56:57], v[38:39]
	v_fma_f64 v[38:39], v[36:37], s[20:21], v[38:39]
	s_delay_alu instid0(VALU_DEP_2) | instskip(NEXT) | instid1(VALU_DEP_2)
	v_add_f64_e32 v[8:9], v[40:41], v[8:9]
	v_add_f64_e32 v[6:7], v[38:39], v[6:7]
	v_mul_f64_e32 v[38:39], s[36:37], v[4:5]
	s_delay_alu instid0(VALU_DEP_1) | instskip(SKIP_1) | instid1(VALU_DEP_2)
	v_fma_f64 v[40:41], v[36:37], s[30:31], v[38:39]
	v_fma_f64 v[38:39], v[36:37], s[34:35], v[38:39]
	v_add_f64_e32 v[12:13], v[40:41], v[12:13]
	s_delay_alu instid0(VALU_DEP_2) | instskip(SKIP_1) | instid1(VALU_DEP_1)
	v_add_f64_e32 v[10:11], v[38:39], v[10:11]
	v_mul_f64_e32 v[38:39], s[50:51], v[4:5]
	v_fma_f64 v[40:41], v[36:37], s[52:53], v[38:39]
	v_fma_f64 v[38:39], v[36:37], s[48:49], v[38:39]
	s_delay_alu instid0(VALU_DEP_2) | instskip(NEXT) | instid1(VALU_DEP_2)
	v_add_f64_e32 v[16:17], v[40:41], v[16:17]
	v_add_f64_e32 v[14:15], v[38:39], v[14:15]
	v_mul_f64_e32 v[38:39], s[40:41], v[4:5]
	s_delay_alu instid0(VALU_DEP_1) | instskip(SKIP_1) | instid1(VALU_DEP_2)
	v_fma_f64 v[40:41], v[36:37], s[42:43], v[38:39]
	v_fma_f64 v[38:39], v[36:37], s[38:39], v[38:39]
	v_add_f64_e32 v[20:21], v[40:41], v[20:21]
	s_delay_alu instid0(VALU_DEP_2) | instskip(SKIP_1) | instid1(VALU_DEP_1)
	v_add_f64_e32 v[18:19], v[38:39], v[18:19]
	v_mul_f64_e32 v[38:39], s[14:15], v[4:5]
	v_fma_f64 v[40:41], v[36:37], s[12:13], v[38:39]
	v_fma_f64 v[38:39], v[36:37], s[54:55], v[38:39]
	s_delay_alu instid0(VALU_DEP_2) | instskip(NEXT) | instid1(VALU_DEP_2)
	v_add_f64_e32 v[24:25], v[40:41], v[24:25]
	v_add_f64_e32 v[22:23], v[38:39], v[22:23]
	v_mul_f64_e32 v[38:39], s[6:7], v[4:5]
	s_delay_alu instid0(VALU_DEP_1) | instskip(SKIP_1) | instid1(VALU_DEP_2)
	v_fma_f64 v[40:41], v[36:37], s[44:45], v[38:39]
	v_fma_f64 v[38:39], v[36:37], s[2:3], v[38:39]
	v_add_f64_e32 v[28:29], v[40:41], v[28:29]
	s_delay_alu instid0(VALU_DEP_2) | instskip(SKIP_2) | instid1(VALU_DEP_2)
	v_add_f64_e32 v[26:27], v[38:39], v[26:27]
	v_mul_f64_e32 v[38:39], s[28:29], v[4:5]
	v_mul_f64_e32 v[4:5], s[18:19], v[4:5]
	v_fma_f64 v[40:41], v[36:37], s[26:27], v[38:39]
	v_fma_f64 v[38:39], v[36:37], s[24:25], v[38:39]
	s_delay_alu instid0(VALU_DEP_2) | instskip(NEXT) | instid1(VALU_DEP_2)
	v_add_f64_e32 v[32:33], v[40:41], v[32:33]
	v_add_f64_e32 v[30:31], v[38:39], v[30:31]
	v_fma_f64 v[38:39], v[36:37], s[16:17], v[4:5]
	v_fma_f64 v[4:5], v[36:37], s[46:47], v[4:5]
	s_delay_alu instid0(VALU_DEP_2)
	v_add_f64_e32 v[34:35], v[38:39], v[34:35]
	s_clause 0x1
	scratch_load_b64 v[36:37], off, off offset:352 th:TH_LOAD_LU
	scratch_load_b64 v[38:39], off, off offset:384 th:TH_LOAD_LU
	v_add_f64_e32 v[2:3], v[4:5], v[2:3]
	v_add_f64_e32 v[4:5], v[65:66], v[77:78]
	s_wait_loadcnt 0x0
	v_add_f64_e64 v[36:37], v[36:37], -v[38:39]
	s_delay_alu instid0(VALU_DEP_2) | instskip(NEXT) | instid1(VALU_DEP_1)
	v_mul_f64_e32 v[38:39], s[40:41], v[4:5]
	v_fma_f64 v[40:41], v[36:37], s[42:43], v[38:39]
	v_fma_f64 v[38:39], v[36:37], s[38:39], v[38:39]
	s_delay_alu instid0(VALU_DEP_2) | instskip(NEXT) | instid1(VALU_DEP_2)
	v_add_f64_e32 v[8:9], v[40:41], v[8:9]
	v_add_f64_e32 v[6:7], v[38:39], v[6:7]
	v_mul_f64_e32 v[38:39], s[18:19], v[4:5]
	s_delay_alu instid0(VALU_DEP_1) | instskip(SKIP_1) | instid1(VALU_DEP_2)
	v_fma_f64 v[40:41], v[36:37], s[16:17], v[38:39]
	v_fma_f64 v[38:39], v[36:37], s[46:47], v[38:39]
	v_add_f64_e32 v[12:13], v[40:41], v[12:13]
	s_delay_alu instid0(VALU_DEP_2) | instskip(SKIP_1) | instid1(VALU_DEP_1)
	v_add_f64_e32 v[10:11], v[38:39], v[10:11]
	v_mul_f64_e32 v[38:39], s[14:15], v[4:5]
	v_fma_f64 v[40:41], v[36:37], s[54:55], v[38:39]
	v_fma_f64 v[38:39], v[36:37], s[12:13], v[38:39]
	s_delay_alu instid0(VALU_DEP_2) | instskip(NEXT) | instid1(VALU_DEP_2)
	v_add_f64_e32 v[16:17], v[40:41], v[16:17]
	v_add_f64_e32 v[14:15], v[38:39], v[14:15]
	v_mul_f64_e32 v[38:39], s[22:23], v[4:5]
	s_delay_alu instid0(VALU_DEP_1) | instskip(SKIP_1) | instid1(VALU_DEP_2)
	v_fma_f64 v[40:41], v[36:37], s[20:21], v[38:39]
	v_fma_f64 v[38:39], v[36:37], s[56:57], v[38:39]
	v_add_f64_e32 v[20:21], v[40:41], v[20:21]
	s_delay_alu instid0(VALU_DEP_2) | instskip(SKIP_1) | instid1(VALU_DEP_1)
	v_add_f64_e32 v[18:19], v[38:39], v[18:19]
	v_mul_f64_e32 v[38:39], s[50:51], v[4:5]
	v_fma_f64 v[40:41], v[36:37], s[52:53], v[38:39]
	v_fma_f64 v[38:39], v[36:37], s[48:49], v[38:39]
	s_delay_alu instid0(VALU_DEP_2) | instskip(NEXT) | instid1(VALU_DEP_2)
	v_add_f64_e32 v[24:25], v[40:41], v[24:25]
	v_add_f64_e32 v[22:23], v[38:39], v[22:23]
	v_mul_f64_e32 v[38:39], s[28:29], v[4:5]
	s_delay_alu instid0(VALU_DEP_1) | instskip(SKIP_1) | instid1(VALU_DEP_2)
	v_fma_f64 v[40:41], v[36:37], s[26:27], v[38:39]
	v_fma_f64 v[38:39], v[36:37], s[24:25], v[38:39]
	v_add_f64_e32 v[28:29], v[40:41], v[28:29]
	s_delay_alu instid0(VALU_DEP_2) | instskip(SKIP_2) | instid1(VALU_DEP_2)
	v_add_f64_e32 v[26:27], v[38:39], v[26:27]
	v_mul_f64_e32 v[38:39], s[6:7], v[4:5]
	v_mul_f64_e32 v[4:5], s[36:37], v[4:5]
	v_fma_f64 v[40:41], v[36:37], s[2:3], v[38:39]
	v_fma_f64 v[38:39], v[36:37], s[44:45], v[38:39]
	s_delay_alu instid0(VALU_DEP_2) | instskip(NEXT) | instid1(VALU_DEP_2)
	v_add_f64_e32 v[32:33], v[40:41], v[32:33]
	v_add_f64_e32 v[30:31], v[38:39], v[30:31]
	v_fma_f64 v[38:39], v[36:37], s[34:35], v[4:5]
	v_fma_f64 v[4:5], v[36:37], s[30:31], v[4:5]
	scratch_load_b64 v[36:37], off, off offset:336 th:TH_LOAD_LU ; 8-byte Folded Reload
	global_wb scope:SCOPE_SE
	s_wait_storecnt 0x0
	s_wait_loadcnt_dscnt 0x0
	s_barrier_signal -1
	s_barrier_wait -1
	global_inv scope:SCOPE_SE
	v_add_f64_e32 v[34:35], v[38:39], v[34:35]
	v_add_f64_e32 v[2:3], v[4:5], v[2:3]
	v_add_f64_e32 v[4:5], v[58:59], v[75:76]
	s_delay_alu instid0(VALU_DEP_1) | instskip(SKIP_1) | instid1(VALU_DEP_1)
	v_mul_f64_e32 v[38:39], s[28:29], v[4:5]
	v_add_f64_e64 v[36:37], v[36:37], -v[228:229]
	v_fma_f64 v[40:41], v[36:37], s[26:27], v[38:39]
	s_delay_alu instid0(VALU_DEP_1) | instskip(SKIP_1) | instid1(VALU_DEP_1)
	v_add_f64_e32 v[172:173], v[40:41], v[8:9]
	v_fma_f64 v[8:9], v[36:37], s[24:25], v[38:39]
	v_add_f64_e32 v[138:139], v[8:9], v[6:7]
	v_mul_f64_e32 v[6:7], s[50:51], v[4:5]
	s_delay_alu instid0(VALU_DEP_1) | instskip(SKIP_1) | instid1(VALU_DEP_2)
	v_fma_f64 v[8:9], v[36:37], s[48:49], v[6:7]
	v_fma_f64 v[6:7], v[36:37], s[52:53], v[6:7]
	v_add_f64_e32 v[166:167], v[8:9], v[12:13]
	s_delay_alu instid0(VALU_DEP_2) | instskip(SKIP_1) | instid1(VALU_DEP_1)
	v_add_f64_e32 v[140:141], v[6:7], v[10:11]
	v_mul_f64_e32 v[6:7], s[40:41], v[4:5]
	v_fma_f64 v[8:9], v[36:37], s[42:43], v[6:7]
	v_fma_f64 v[6:7], v[36:37], s[38:39], v[6:7]
	s_delay_alu instid0(VALU_DEP_2) | instskip(NEXT) | instid1(VALU_DEP_2)
	v_add_f64_e32 v[170:171], v[8:9], v[16:17]
	v_add_f64_e32 v[142:143], v[6:7], v[14:15]
	v_mul_f64_e32 v[6:7], s[6:7], v[4:5]
	s_delay_alu instid0(VALU_DEP_1) | instskip(SKIP_1) | instid1(VALU_DEP_2)
	v_fma_f64 v[8:9], v[36:37], s[2:3], v[6:7]
	v_fma_f64 v[6:7], v[36:37], s[44:45], v[6:7]
	v_add_f64_e32 v[162:163], v[8:9], v[20:21]
	s_delay_alu instid0(VALU_DEP_2) | instskip(SKIP_1) | instid1(VALU_DEP_1)
	v_add_f64_e32 v[144:145], v[6:7], v[18:19]
	v_mul_f64_e32 v[6:7], s[22:23], v[4:5]
	v_fma_f64 v[8:9], v[36:37], s[56:57], v[6:7]
	v_fma_f64 v[6:7], v[36:37], s[20:21], v[6:7]
	s_delay_alu instid0(VALU_DEP_2) | instskip(NEXT) | instid1(VALU_DEP_2)
	v_add_f64_e32 v[164:165], v[8:9], v[24:25]
	v_add_f64_e32 v[146:147], v[6:7], v[22:23]
	v_mul_f64_e32 v[6:7], s[18:19], v[4:5]
	s_delay_alu instid0(VALU_DEP_1) | instskip(SKIP_1) | instid1(VALU_DEP_2)
	v_fma_f64 v[8:9], v[36:37], s[16:17], v[6:7]
	v_fma_f64 v[6:7], v[36:37], s[46:47], v[6:7]
	v_add_f64_e32 v[158:159], v[8:9], v[28:29]
	s_delay_alu instid0(VALU_DEP_2) | instskip(SKIP_3) | instid1(VALU_DEP_1)
	v_add_f64_e32 v[148:149], v[6:7], v[26:27]
	v_mul_f64_e32 v[6:7], s[36:37], v[4:5]
	v_mul_f64_e32 v[4:5], s[14:15], v[4:5]
	v_lshlrev_b32_e32 v26, 3, v236
	v_add3_u32 v174, 0, v26, v187
	s_delay_alu instid0(VALU_DEP_4) | instskip(SKIP_1) | instid1(VALU_DEP_2)
	v_fma_f64 v[8:9], v[36:37], s[34:35], v[6:7]
	v_fma_f64 v[6:7], v[36:37], s[30:31], v[6:7]
	v_add_f64_e32 v[160:161], v[8:9], v[32:33]
	s_delay_alu instid0(VALU_DEP_2) | instskip(SKIP_2) | instid1(VALU_DEP_2)
	v_add_f64_e32 v[150:151], v[6:7], v[30:31]
	v_fma_f64 v[6:7], v[36:37], s[12:13], v[4:5]
	v_fma_f64 v[4:5], v[36:37], s[54:55], v[4:5]
	v_add_f64_e32 v[154:155], v[6:7], v[34:35]
	s_delay_alu instid0(VALU_DEP_2)
	v_add_f64_e32 v[156:157], v[4:5], v[2:3]
	scratch_load_b32 v2, off, off offset:20 ; 4-byte Folded Reload
	s_wait_loadcnt 0x0
	ds_load_b64 v[126:127], v2
	ds_load_2addr_b64 v[2:5], v237 offset0:119 offset1:136
	ds_load_2addr_b64 v[6:9], v237 offset0:221 offset1:238
	;; [unrolled: 1-line block ×4, first 2 shown]
	scratch_load_b32 v18, off, off offset:48 ; 4-byte Folded Reload
	s_wait_loadcnt 0x0
	ds_load_b64 v[128:129], v18
	v_add_nc_u32_e32 v18, 0x400, v237
	ds_load_2addr_b64 v[22:25], v18 offset0:127 offset1:144
	ds_load_2addr_b64 v[18:21], v54 offset0:237 offset1:254
	ds_load_b64 v[130:131], v174
	ds_load_2addr_b64 v[30:33], v237 offset0:153 offset1:170
	ds_load_2addr_b64 v[34:37], v54 offset0:135 offset1:152
	scratch_load_b32 v26, off, off          ; 4-byte Folded Reload
	s_wait_loadcnt 0x0
	v_lshlrev_b32_e32 v26, 3, v26
	s_delay_alu instid0(VALU_DEP_1)
	v_add3_u32 v175, 0, v26, v187
	ds_load_b64 v[132:133], v175
	ds_load_2addr_b64 v[42:45], v54 offset0:33 offset1:50
	scratch_load_b32 v26, off, off offset:16 ; 4-byte Folded Reload
	ds_load_2addr_b64 v[38:41], v55 offset0:15 offset1:32
	s_wait_loadcnt 0x0
	v_lshlrev_b32_e32 v26, 3, v26
	s_delay_alu instid0(VALU_DEP_1)
	v_add3_u32 v176, 0, v26, v187
	ds_load_b64 v[134:135], v176
	ds_load_2addr_b64 v[46:49], v237 offset0:187 offset1:204
	ds_load_2addr_b64 v[50:53], v54 offset0:169 offset1:186
	;; [unrolled: 1-line block ×5, first 2 shown]
	global_wb scope:SCOPE_SE
	s_wait_dscnt 0x0
	s_barrier_signal -1
	s_barrier_wait -1
	global_inv scope:SCOPE_SE
	ds_store_2addr_b64 v86, v[136:137], v[218:219] offset1:7
	ds_store_2addr_b64 v86, v[224:225], v[226:227] offset0:14 offset1:21
	ds_store_2addr_b64 v86, v[220:221], v[222:223] offset0:28 offset1:35
	;; [unrolled: 1-line block ×7, first 2 shown]
	ds_store_b64 v86, v[152:153] offset:896
	ds_store_2addr_b64 v87, v[168:169], v[172:173] offset1:7
	ds_store_2addr_b64 v87, v[166:167], v[170:171] offset0:14 offset1:21
	ds_store_2addr_b64 v87, v[162:163], v[164:165] offset0:28 offset1:35
	;; [unrolled: 1-line block ×7, first 2 shown]
	ds_store_b64 v87, v[138:139] offset:896
	s_and_saveexec_b32 s33, s0
	s_cbranch_execz .LBB0_20
; %bb.19:
	s_clause 0x3
	scratch_load_b64 v[63:64], off, off offset:304 th:TH_LOAD_LU
	scratch_load_b64 v[65:66], off, off offset:312 th:TH_LOAD_LU
	scratch_load_b64 v[188:189], off, off offset:64 th:TH_LOAD_LU
	scratch_load_b64 v[97:98], off, off offset:296 th:TH_LOAD_LU
	s_mov_b32 s2, 0x370991
	s_mov_b32 s14, 0x75d4884
	;; [unrolled: 1-line block ×40, first 2 shown]
	s_wait_alu 0xfffe
	s_mov_b32 s6, s0
	s_mov_b32 s16, s12
	;; [unrolled: 1-line block ×8, first 2 shown]
	v_add3_u32 v62, 0, v62, v187
	s_wait_loadcnt 0x2
	v_add_f64_e64 v[63:64], v[65:66], -v[63:64]
	s_wait_loadcnt 0x0
	v_add_f64_e32 v[65:66], v[97:98], v[188:189]
	s_delay_alu instid0(VALU_DEP_1)
	v_mul_f64_e32 v[67:68], s[14:15], v[65:66]
	v_mul_f64_e32 v[69:70], s[24:25], v[65:66]
	;; [unrolled: 1-line block ×8, first 2 shown]
	v_fma_f64 v[81:82], v[63:64], s[12:13], v[67:68]
	s_wait_alu 0xfffe
	v_fma_f64 v[67:68], v[63:64], s[16:17], v[67:68]
	v_fma_f64 v[83:84], v[63:64], s[36:37], v[69:70]
	;; [unrolled: 1-line block ×15, first 2 shown]
	v_add_f64_e32 v[65:66], v[0:1], v[97:98]
	v_add_f64_e32 v[81:82], v[0:1], v[81:82]
	;; [unrolled: 1-line block ×17, first 2 shown]
	s_clause 0x1
	scratch_load_b64 v[63:64], off, off offset:184 th:TH_LOAD_LU
	scratch_load_b64 v[97:98], off, off offset:288 th:TH_LOAD_LU
	s_wait_loadcnt 0x0
	v_add_f64_e64 v[63:64], v[63:64], -v[97:98]
	s_clause 0x1
	scratch_load_b64 v[97:98], off, off offset:192 th:TH_LOAD_LU
	scratch_load_b64 v[99:100], off, off offset:280 th:TH_LOAD_LU
	s_wait_loadcnt 0x0
	v_add_f64_e64 v[97:98], v[97:98], -v[99:100]
	;; [unrolled: 5-line block ×6, first 2 shown]
	s_clause 0x9
	scratch_load_b64 v[107:108], off, off offset:232 th:TH_LOAD_LU
	scratch_load_b64 v[109:110], off, off offset:240 th:TH_LOAD_LU
	;; [unrolled: 1-line block ×10, first 2 shown]
	s_wait_loadcnt 0x8
	v_add_f64_e64 v[107:108], v[107:108], -v[109:110]
	scratch_load_b64 v[109:110], off, off offset:168 th:TH_LOAD_LU ; 8-byte Folded Reload
	s_wait_loadcnt 0x0
	v_add_f64_e32 v[65:66], v[65:66], v[109:110]
	v_add_f64_e32 v[109:110], v[109:110], v[190:191]
	s_delay_alu instid0(VALU_DEP_1)
	v_mul_f64_e32 v[111:112], s[14:15], v[109:110]
	v_mul_f64_e32 v[113:114], s[24:25], v[109:110]
	;; [unrolled: 1-line block ×8, first 2 shown]
	v_fma_f64 v[136:137], v[63:64], s[12:13], v[111:112]
	v_fma_f64 v[111:112], v[63:64], s[16:17], v[111:112]
	;; [unrolled: 1-line block ×16, first 2 shown]
	scratch_load_b64 v[109:110], off, off offset:160 th:TH_LOAD_LU ; 8-byte Folded Reload
	v_add_f64_e32 v[95:96], v[136:137], v[95:96]
	v_add_f64_e32 v[0:1], v[111:112], v[0:1]
	scratch_load_b64 v[111:112], off, off offset:144 th:TH_LOAD_LU ; 8-byte Folded Reload
	v_add_f64_e32 v[65:66], v[65:66], v[152:153]
	v_add_f64_e32 v[152:153], v[152:153], v[192:193]
	v_add_f64_e32 v[67:68], v[113:114], v[67:68]
	v_add_f64_e32 v[81:82], v[138:139], v[81:82]
	v_add_f64_e32 v[69:70], v[117:118], v[69:70]
	v_add_f64_e32 v[93:94], v[140:141], v[93:94]
	v_add_f64_e32 v[83:84], v[142:143], v[83:84]
	v_add_f64_e32 v[91:92], v[144:145], v[91:92]
	v_add_f64_e32 v[71:72], v[121:122], v[71:72]
	v_add_f64_e32 v[85:86], v[146:147], v[85:86]
	v_add_f64_e32 v[89:90], v[148:149], v[89:90]
	v_add_f64_e32 v[87:88], v[150:151], v[87:88]
	v_add_f64_e32 v[63:64], v[63:64], v[73:74]
	v_add_f64_e32 v[73:74], v[123:124], v[75:76]
	v_add_f64_e32 v[75:76], v[119:120], v[77:78]
	v_add_f64_e32 v[77:78], v[115:116], v[79:80]
	v_add_f64_e32 v[65:66], v[65:66], v[200:201]
	v_mul_f64_e32 v[156:157], s[28:29], v[152:153]
	v_mul_f64_e32 v[158:159], s[34:35], v[152:153]
	;; [unrolled: 1-line block ×6, first 2 shown]
	v_add_f64_e32 v[65:66], v[65:66], v[198:199]
	v_fma_f64 v[170:171], v[97:98], s[44:45], v[156:157]
	v_fma_f64 v[156:157], v[97:98], s[46:47], v[156:157]
	;; [unrolled: 1-line block ×12, first 2 shown]
	v_add_f64_e32 v[65:66], v[65:66], v[196:197]
	v_add_f64_e32 v[81:82], v[170:171], v[81:82]
	;; [unrolled: 1-line block ×14, first 2 shown]
	s_wait_loadcnt 0x0
	v_add_f64_e32 v[79:80], v[194:195], v[111:112]
	scratch_load_b64 v[194:195], off, off offset:88 th:TH_LOAD_LU ; 8-byte Folded Reload
	v_add_f64_e32 v[65:66], v[65:66], v[109:110]
	v_add_f64_e32 v[109:110], v[109:110], v[154:155]
	s_delay_alu instid0(VALU_DEP_2) | instskip(SKIP_2) | instid1(VALU_DEP_3)
	v_add_f64_e32 v[65:66], v[65:66], v[154:155]
	v_mul_f64_e32 v[154:155], s[20:21], v[152:153]
	v_mul_f64_e32 v[152:153], s[30:31], v[152:153]
	v_add_f64_e32 v[65:66], v[65:66], v[111:112]
	s_delay_alu instid0(VALU_DEP_3) | instskip(SKIP_1) | instid1(VALU_DEP_4)
	v_fma_f64 v[168:169], v[97:98], s[18:19], v[154:155]
	v_fma_f64 v[154:155], v[97:98], s[22:23], v[154:155]
	;; [unrolled: 1-line block ×4, first 2 shown]
	s_delay_alu instid0(VALU_DEP_4) | instskip(NEXT) | instid1(VALU_DEP_4)
	v_add_f64_e32 v[95:96], v[168:169], v[95:96]
	v_add_f64_e32 v[0:1], v[154:155], v[0:1]
	s_delay_alu instid0(VALU_DEP_4) | instskip(NEXT) | instid1(VALU_DEP_4)
	v_add_f64_e32 v[87:88], v[185:186], v[87:88]
	v_add_f64_e32 v[63:64], v[97:98], v[63:64]
	s_wait_loadcnt 0x0
	v_add_f64_e32 v[111:112], v[200:201], v[194:195]
	s_delay_alu instid0(VALU_DEP_1)
	v_mul_f64_e32 v[113:114], s[24:25], v[111:112]
	v_mul_f64_e32 v[115:116], s[34:35], v[111:112]
	;; [unrolled: 1-line block ×8, first 2 shown]
	v_fma_f64 v[138:139], v[99:100], s[36:37], v[113:114]
	v_fma_f64 v[113:114], v[99:100], s[38:39], v[113:114]
	v_fma_f64 v[140:141], v[99:100], s[52:53], v[115:116]
	v_fma_f64 v[115:116], v[99:100], s[54:55], v[115:116]
	v_fma_f64 v[142:143], v[99:100], s[42:43], v[117:118]
	v_fma_f64 v[117:118], v[99:100], s[40:41], v[117:118]
	v_fma_f64 v[144:145], v[99:100], s[6:7], v[119:120]
	v_fma_f64 v[119:120], v[99:100], s[0:1], v[119:120]
	v_fma_f64 v[146:147], v[99:100], s[18:19], v[121:122]
	v_fma_f64 v[121:122], v[99:100], s[22:23], v[121:122]
	v_fma_f64 v[148:149], v[99:100], s[48:49], v[123:124]
	v_fma_f64 v[123:124], v[99:100], s[50:51], v[123:124]
	v_fma_f64 v[150:151], v[99:100], s[46:47], v[136:137]
	v_fma_f64 v[136:137], v[99:100], s[44:45], v[136:137]
	v_fma_f64 v[152:153], v[99:100], s[16:17], v[111:112]
	v_fma_f64 v[99:100], v[99:100], s[12:13], v[111:112]
	scratch_load_b64 v[111:112], off, off offset:120 th:TH_LOAD_LU ; 8-byte Folded Reload
	v_add_f64_e32 v[95:96], v[138:139], v[95:96]
	v_add_f64_e32 v[0:1], v[113:114], v[0:1]
	;; [unrolled: 1-line block ×16, first 2 shown]
	v_mul_f64_e32 v[150:151], s[24:25], v[79:80]
	v_mul_f64_e32 v[152:153], s[28:29], v[79:80]
	s_wait_loadcnt 0x0
	v_add_f64_e32 v[97:98], v[196:197], v[111:112]
	scratch_load_b64 v[196:197], off, off offset:96 th:TH_LOAD_LU ; 8-byte Folded Reload
	v_add_f64_e32 v[65:66], v[65:66], v[111:112]
	v_mul_f64_e32 v[99:100], s[28:29], v[97:98]
	v_mul_f64_e32 v[113:114], s[2:3], v[97:98]
	;; [unrolled: 1-line block ×6, first 2 shown]
	v_fma_f64 v[123:124], v[103:104], s[44:45], v[99:100]
	v_fma_f64 v[99:100], v[103:104], s[46:47], v[99:100]
	;; [unrolled: 1-line block ×12, first 2 shown]
	s_wait_loadcnt 0x0
	v_add_f64_e32 v[111:112], v[198:199], v[196:197]
	v_add_f64_e32 v[65:66], v[65:66], v[196:197]
	s_delay_alu instid0(VALU_DEP_2)
	v_mul_f64_e32 v[154:155], s[26:27], v[111:112]
	v_mul_f64_e32 v[156:157], s[30:31], v[111:112]
	;; [unrolled: 1-line block ×8, first 2 shown]
	v_add_f64_e32 v[65:66], v[65:66], v[194:195]
	v_fma_f64 v[168:169], v[101:102], s[40:41], v[154:155]
	v_fma_f64 v[154:155], v[101:102], s[42:43], v[154:155]
	;; [unrolled: 1-line block ×16, first 2 shown]
	v_mul_f64_e32 v[111:112], s[26:27], v[97:98]
	v_mul_f64_e32 v[97:98], s[20:21], v[97:98]
	v_add_f64_e32 v[65:66], v[65:66], v[192:193]
	v_add_f64_e32 v[95:96], v[168:169], v[95:96]
	;; [unrolled: 1-line block ×7, first 2 shown]
	v_mul_f64_e32 v[154:155], s[2:3], v[79:80]
	v_mul_f64_e32 v[156:157], s[34:35], v[79:80]
	;; [unrolled: 1-line block ×3, first 2 shown]
	v_add_f64_e32 v[83:84], v[177:178], v[83:84]
	v_add_f64_e32 v[91:92], v[179:180], v[91:92]
	;; [unrolled: 1-line block ×7, first 2 shown]
	v_fma_f64 v[136:137], v[103:104], s[42:43], v[111:112]
	v_fma_f64 v[111:112], v[103:104], s[40:41], v[111:112]
	;; [unrolled: 1-line block ×4, first 2 shown]
	v_mul_f64_e32 v[101:102], s[30:31], v[79:80]
	v_mul_f64_e32 v[103:104], s[20:21], v[79:80]
	;; [unrolled: 1-line block ×3, first 2 shown]
	v_add_f64_e32 v[87:88], v[185:186], v[87:88]
	v_add_f64_e32 v[71:72], v[164:165], v[71:72]
	;; [unrolled: 1-line block ×3, first 2 shown]
	v_fma_f64 v[164:165], v[105:106], s[36:37], v[150:151]
	v_fma_f64 v[150:151], v[105:106], s[38:39], v[150:151]
	;; [unrolled: 1-line block ×4, first 2 shown]
	v_add_f64_e32 v[65:66], v[65:66], v[190:191]
	v_add_f64_e32 v[95:96], v[123:124], v[95:96]
	;; [unrolled: 1-line block ×3, first 2 shown]
	v_mul_f64_e32 v[99:100], s[2:3], v[109:110]
	v_add_f64_e32 v[93:94], v[138:139], v[93:94]
	v_add_f64_e32 v[77:78], v[113:114], v[77:78]
	v_fma_f64 v[168:169], v[105:106], s[0:1], v[154:155]
	v_fma_f64 v[154:155], v[105:106], s[6:7], v[154:155]
	;; [unrolled: 1-line block ×6, first 2 shown]
	v_add_f64_e32 v[83:84], v[140:141], v[83:84]
	v_add_f64_e32 v[91:92], v[142:143], v[91:92]
	v_mul_f64_e32 v[113:114], s[28:29], v[109:110]
	v_add_f64_e32 v[69:70], v[115:116], v[69:70]
	v_add_f64_e32 v[81:82], v[136:137], v[81:82]
	;; [unrolled: 1-line block ×3, first 2 shown]
	v_mul_f64_e32 v[111:112], s[14:15], v[109:110]
	v_add_f64_e32 v[85:86], v[144:145], v[85:86]
	v_fma_f64 v[160:161], v[105:106], s[48:49], v[101:102]
	v_fma_f64 v[101:102], v[105:106], s[50:51], v[101:102]
	;; [unrolled: 1-line block ×6, first 2 shown]
	v_mul_f64_e32 v[105:106], s[30:31], v[109:110]
	v_add_f64_e32 v[89:90], v[146:147], v[89:90]
	v_add_f64_e32 v[75:76], v[117:118], v[75:76]
	v_mul_f64_e32 v[115:116], s[20:21], v[109:110]
	v_mul_f64_e32 v[117:118], s[26:27], v[109:110]
	v_add_f64_e32 v[87:88], v[148:149], v[87:88]
	v_add_f64_e32 v[63:64], v[97:98], v[63:64]
	v_mul_f64_e32 v[97:98], s[34:35], v[109:110]
	v_mul_f64_e32 v[109:110], s[24:25], v[109:110]
	v_add_f64_e32 v[71:72], v[119:120], v[71:72]
	v_add_f64_e32 v[73:74], v[121:122], v[73:74]
	v_add_f64_e32 v[65:66], v[65:66], v[188:189]
	v_fma_f64 v[121:122], v[107:108], s[6:7], v[99:100]
	v_fma_f64 v[99:100], v[107:108], s[0:1], v[99:100]
	v_add_f64_e32 v[93:94], v[164:165], v[93:94]
	v_add_f64_e32 v[77:78], v[150:151], v[77:78]
	;; [unrolled: 1-line block ×4, first 2 shown]
	v_fma_f64 v[138:139], v[107:108], s[44:45], v[113:114]
	v_fma_f64 v[113:114], v[107:108], s[46:47], v[113:114]
	v_add_f64_e32 v[69:70], v[152:153], v[69:70]
	v_fma_f64 v[136:137], v[107:108], s[16:17], v[111:112]
	v_add_f64_e32 v[85:86], v[170:171], v[85:86]
	;; [unrolled: 2-line block ×3, first 2 shown]
	v_add_f64_e32 v[81:82], v[162:163], v[81:82]
	v_add_f64_e32 v[67:68], v[103:104], v[67:68]
	;; [unrolled: 1-line block ×3, first 2 shown]
	v_fma_f64 v[123:124], v[107:108], s[48:49], v[105:106]
	v_add_f64_e32 v[89:90], v[172:173], v[89:90]
	v_fma_f64 v[105:106], v[107:108], s[50:51], v[105:106]
	v_fma_f64 v[140:141], v[107:108], s[22:23], v[115:116]
	;; [unrolled: 1-line block ×9, first 2 shown]
	v_add_f64_e32 v[87:88], v[177:178], v[87:88]
	v_add_f64_e32 v[63:64], v[79:80], v[63:64]
	;; [unrolled: 1-line block ×16, first 2 shown]
	v_add_nc_u32_e32 v95, 0x800, v62
	v_add_nc_u32_e32 v96, 0x1000, v62
	v_add_f64_e32 v[87:88], v[144:145], v[87:88]
	v_add_f64_e32 v[63:64], v[107:108], v[63:64]
	;; [unrolled: 1-line block ×5, first 2 shown]
	ds_store_2addr_b64 v95, v[81:82], v[93:94] offset0:234 offset1:241
	ds_store_2addr_b64 v95, v[83:84], v[91:92] offset0:248 offset1:255
	;; [unrolled: 1-line block ×8, first 2 shown]
	ds_store_b64 v62, v[0:1] offset:4704
.LBB0_20:
	s_or_b32 exec_lo, exec_lo, s33
	global_wb scope:SCOPE_SE
	s_wait_dscnt 0x0
	s_barrier_signal -1
	s_barrier_wait -1
	global_inv scope:SCOPE_SE
	s_and_saveexec_b32 s0, vcc_lo
	s_cbranch_execz .LBB0_22
; %bb.21:
	v_add_nc_u32_e32 v231, 0x66, v232
	v_add_nc_u32_e32 v255, 0x55, v232
	;; [unrolled: 1-line block ×4, first 2 shown]
	s_mov_b32 s7, 0xbfee6f0e
	v_dual_mov_b32 v1, 0 :: v_dual_lshlrev_b32 v0, 2, v231
	s_mov_b32 s0, 0x4755a5e
	s_mov_b32 s1, 0xbfe2cf23
	;; [unrolled: 1-line block ×3, first 2 shown]
	s_wait_alu 0xfffe
	s_mov_b32 s2, s0
	v_lshlrev_b64_e32 v[62:63], 4, v[0:1]
	v_lshlrev_b32_e32 v0, 2, v255
	s_delay_alu instid0(VALU_DEP_1) | instskip(NEXT) | instid1(VALU_DEP_3)
	v_lshlrev_b64_e32 v[64:65], 4, v[0:1]
	v_add_co_u32 v114, vcc_lo, s4, v62
	s_wait_alu 0xfffd
	s_delay_alu instid0(VALU_DEP_4) | instskip(NEXT) | instid1(VALU_DEP_3)
	v_add_co_ci_u32_e32 v115, vcc_lo, s5, v63, vcc_lo
	v_add_co_u32 v86, vcc_lo, s4, v64
	s_wait_alu 0xfffd
	v_add_co_ci_u32_e32 v87, vcc_lo, s5, v65, vcc_lo
	s_clause 0x1
	global_load_b128 v[62:65], v[114:115], off offset:1808
	global_load_b128 v[66:69], v[86:87], off offset:1808
	scratch_load_b32 v0, off, off offset:16 th:TH_LOAD_LU ; 4-byte Folded Reload
	s_clause 0x1
	global_load_b128 v[82:85], v[114:115], off offset:1840
	global_load_b128 v[74:77], v[86:87], off offset:1840
	s_wait_loadcnt 0x3
	v_mul_f64_e32 v[172:173], v[58:59], v[68:69]
	s_wait_loadcnt 0x2
	v_lshlrev_b32_e32 v0, 2, v0
	s_wait_loadcnt 0x1
	v_mul_f64_e32 v[209:210], v[56:57], v[84:85]
	s_wait_loadcnt 0x0
	v_mul_f64_e32 v[211:212], v[54:55], v[76:77]
	v_lshlrev_b64_e32 v[70:71], 4, v[0:1]
	s_delay_alu instid0(VALU_DEP_1) | instskip(SKIP_1) | instid1(VALU_DEP_2)
	v_add_co_u32 v88, vcc_lo, s4, v70
	s_wait_alu 0xfffd
	v_add_co_ci_u32_e32 v89, vcc_lo, s5, v71, vcc_lo
	s_clause 0x1
	global_load_b128 v[70:73], v[86:87], off offset:1824
	global_load_b128 v[78:81], v[88:89], off offset:1824
	scratch_load_b32 v0, off, off th:TH_LOAD_LU ; 4-byte Folded Reload
	s_clause 0x1
	global_load_b128 v[102:105], v[86:87], off offset:1792
	global_load_b128 v[94:97], v[88:89], off offset:1792
	s_wait_loadcnt 0x4
	v_mul_f64_e32 v[213:214], v[52:53], v[72:73]
	s_wait_loadcnt 0x3
	v_mul_f64_e32 v[217:218], v[50:51], v[80:81]
	s_wait_loadcnt 0x2
	v_lshlrev_b32_e32 v0, 2, v0
	s_wait_loadcnt 0x1
	v_mul_f64_e32 v[219:220], v[48:49], v[104:105]
	s_delay_alu instid0(VALU_DEP_2) | instskip(SKIP_1) | instid1(VALU_DEP_1)
	v_lshlrev_b64_e32 v[86:87], 4, v[0:1]
	v_lshlrev_b32_e32 v0, 2, v236
	v_lshlrev_b64_e32 v[124:125], 4, v[0:1]
	s_delay_alu instid0(VALU_DEP_3) | instskip(SKIP_1) | instid1(VALU_DEP_4)
	v_add_co_u32 v122, vcc_lo, s4, v86
	s_wait_alu 0xfffd
	v_add_co_ci_u32_e32 v123, vcc_lo, s5, v87, vcc_lo
	s_clause 0x3
	global_load_b128 v[90:93], v[88:89], off offset:1808
	global_load_b128 v[106:109], v[122:123], off offset:1808
	;; [unrolled: 1-line block ×4, first 2 shown]
	v_add_co_u32 v148, vcc_lo, s4, v124
	s_clause 0x2
	global_load_b128 v[110:113], v[114:115], off offset:1824
	global_load_b128 v[114:117], v[114:115], off offset:1792
	;; [unrolled: 1-line block ×3, first 2 shown]
	s_wait_alu 0xfffd
	v_add_co_ci_u32_e32 v149, vcc_lo, s5, v125, vcc_lo
	global_load_b128 v[122:125], v[122:123], off offset:1792
	v_lshlrev_b32_e32 v0, 2, v233
	s_clause 0x3
	global_load_b128 v[136:139], v[148:149], off offset:1792
	global_load_b128 v[140:143], v[148:149], off offset:1824
	;; [unrolled: 1-line block ×4, first 2 shown]
	v_lshlrev_b64_e32 v[152:153], 4, v[0:1]
	v_lshlrev_b32_e32 v0, 2, v232
	s_delay_alu instid0(VALU_DEP_1) | instskip(NEXT) | instid1(VALU_DEP_3)
	v_lshlrev_b64_e32 v[0:1], 4, v[0:1]
	v_add_co_u32 v164, vcc_lo, s4, v152
	s_wait_alu 0xfffd
	s_delay_alu instid0(VALU_DEP_4)
	v_add_co_ci_u32_e32 v165, vcc_lo, s5, v153, vcc_lo
	s_clause 0x3
	global_load_b128 v[152:155], v[164:165], off offset:1808
	global_load_b128 v[156:159], v[164:165], off offset:1792
	;; [unrolled: 1-line block ×4, first 2 shown]
	v_add_co_u32 v0, vcc_lo, s4, v0
	s_wait_alu 0xfffd
	v_add_co_ci_u32_e32 v1, vcc_lo, s5, v1, vcc_lo
	s_clause 0x3
	global_load_b128 v[168:171], v[0:1], off offset:1808
	global_load_b128 v[177:180], v[0:1], off offset:1792
	;; [unrolled: 1-line block ×4, first 2 shown]
	ds_load_2addr_b64 v[189:192], v227 offset0:67 offset1:84
	ds_load_2addr_b64 v[193:196], v221 offset0:49 offset1:66
	v_mul_f64_e32 v[0:1], v[60:61], v[64:65]
	ds_load_2addr_b64 v[201:204], v237 offset0:187 offset1:204
	ds_load_2addr_b64 v[197:200], v227 offset0:169 offset1:186
	;; [unrolled: 1-line block ×3, first 2 shown]
	s_mov_b32 s4, 0x134454ff
	s_mov_b32 s5, 0x3fee6f0e
	s_wait_alu 0xfffe
	s_mov_b32 s6, s4
	s_wait_dscnt 0x4
	v_mul_f64_e32 v[64:65], v[191:192], v[64:65]
	v_mul_f64_e32 v[68:69], v[189:190], v[68:69]
	s_wait_dscnt 0x3
	v_mul_f64_e32 v[84:85], v[195:196], v[84:85]
	v_mul_f64_e32 v[76:77], v[193:194], v[76:77]
	s_wait_dscnt 0x2
	v_mul_f64_e32 v[104:105], v[203:204], v[104:105]
	v_fma_f64 v[172:173], v[189:190], v[66:67], -v[172:173]
	s_wait_loadcnt 0x14
	v_mul_f64_e32 v[189:190], v[46:47], v[96:97]
	v_mul_f64_e32 v[96:97], v[201:202], v[96:97]
	s_wait_dscnt 0x1
	v_mul_f64_e32 v[215:216], v[199:200], v[72:73]
	v_fma_f64 v[195:196], v[195:196], v[82:83], -v[209:210]
	v_mul_f64_e32 v[80:81], v[197:198], v[80:81]
	v_fma_f64 v[203:204], v[203:204], v[102:103], -v[219:220]
	v_fma_f64 v[199:200], v[199:200], v[70:71], -v[213:214]
	v_fma_f64 v[197:198], v[197:198], v[78:79], -v[217:218]
	v_fma_f64 v[0:1], v[191:192], v[62:63], -v[0:1]
	v_fma_f64 v[191:192], v[60:61], v[62:63], v[64:65]
	ds_load_2addr_b64 v[60:63], v221 offset0:15 offset1:32
	v_fma_f64 v[221:222], v[58:59], v[66:67], v[68:69]
	v_fma_f64 v[82:83], v[56:57], v[82:83], v[84:85]
	ds_load_2addr_b64 v[64:67], v237 offset0:221 offset1:238
	v_fma_f64 v[102:103], v[48:49], v[102:103], v[104:105]
	v_fma_f64 v[189:190], v[201:202], v[94:95], -v[189:190]
	v_fma_f64 v[94:95], v[46:47], v[94:95], v[96:97]
	ds_load_2addr_b64 v[56:59], v227 offset0:203 offset1:220
	v_add_nc_u32_e32 v68, 0x400, v237
	v_fma_f64 v[50:51], v[50:51], v[78:79], v[80:81]
	ds_load_2addr_b64 v[46:49], v227 offset0:237 offset1:254
	s_wait_loadcnt 0x13
	v_mul_f64_e32 v[223:224], v[44:45], v[92:93]
	s_wait_loadcnt 0x12
	v_mul_f64_e32 v[225:226], v[42:43], v[108:109]
	s_wait_dscnt 0x4
	v_mul_f64_e32 v[84:85], v[205:206], v[108:109]
	v_fma_f64 v[108:109], v[193:194], v[74:75], -v[211:212]
	v_fma_f64 v[193:194], v[54:55], v[74:75], v[76:77]
	ds_load_2addr_b64 v[72:75], v227 offset0:135 offset1:152
	v_mul_f64_e32 v[92:93], v[207:208], v[92:93]
	s_wait_loadcnt 0x11
	v_mul_f64_e32 v[209:210], v[40:41], v[100:101]
	s_wait_dscnt 0x4
	v_mul_f64_e32 v[100:101], v[62:63], v[100:101]
	s_wait_loadcnt 0xe
	v_mul_f64_e32 v[104:105], v[6:7], v[116:117]
	s_wait_dscnt 0x3
	v_mul_f64_e32 v[116:117], v[64:65], v[116:117]
	s_wait_loadcnt 0xd
	v_mul_f64_e32 v[201:202], v[36:37], v[120:121]
	s_wait_loadcnt 0xc
	v_mul_f64_e32 v[96:97], v[32:33], v[124:125]
	v_fma_f64 v[211:212], v[52:53], v[70:71], v[215:216]
	ds_load_2addr_b64 v[52:55], v237 offset0:153 offset1:170
	v_mul_f64_e32 v[213:214], v[38:39], v[88:89]
	v_mul_f64_e32 v[88:89], v[60:61], v[88:89]
	ds_load_2addr_b64 v[68:71], v68 offset0:127 offset1:144
	v_mul_f64_e32 v[80:81], v[10:11], v[112:113]
	s_wait_dscnt 0x4
	v_mul_f64_e32 v[112:113], v[56:57], v[112:113]
	s_wait_loadcnt 0xa
	v_mul_f64_e32 v[215:216], v[34:35], v[142:143]
	ds_load_2addr_b64 v[76:79], v227 offset0:101 offset1:118
	s_wait_loadcnt 0x9
	v_mul_f64_e32 v[217:218], v[20:21], v[146:147]
	s_wait_dscnt 0x3
	v_mul_f64_e32 v[120:121], v[74:75], v[120:121]
	s_wait_dscnt 0x2
	v_mul_f64_e32 v[124:125], v[54:55], v[124:125]
	v_fma_f64 v[207:208], v[207:208], v[90:91], -v[223:224]
	v_fma_f64 v[205:206], v[205:206], v[106:107], -v[225:226]
	v_fma_f64 v[84:85], v[42:43], v[106:107], v[84:85]
	s_wait_loadcnt 0x8
	v_mul_f64_e32 v[106:107], v[24:25], v[150:151]
	s_wait_dscnt 0x1
	v_mul_f64_e32 v[150:151], v[70:71], v[150:151]
	v_fma_f64 v[90:91], v[44:45], v[90:91], v[92:93]
	v_mul_f64_e32 v[92:93], v[30:31], v[138:139]
	v_fma_f64 v[62:63], v[62:63], v[98:99], -v[209:210]
	v_fma_f64 v[40:41], v[40:41], v[98:99], v[100:101]
	v_mul_f64_e32 v[98:99], v[72:73], v[142:143]
	v_mul_f64_e32 v[100:101], v[52:53], v[138:139]
	s_wait_loadcnt 0x7
	v_mul_f64_e32 v[142:143], v[22:23], v[154:155]
	s_wait_loadcnt 0x4
	v_mul_f64_e32 v[209:210], v[18:19], v[166:167]
	v_fma_f64 v[64:65], v[64:65], v[114:115], -v[104:105]
	v_fma_f64 v[6:7], v[6:7], v[114:115], v[116:117]
	v_fma_f64 v[74:75], v[74:75], v[118:119], -v[201:202]
	v_fma_f64 v[54:55], v[54:55], v[122:123], -v[96:97]
	s_wait_loadcnt 0x0
	v_mul_f64_e32 v[96:97], v[12:13], v[187:188]
	ds_load_2addr_b64 v[42:45], v237 offset0:119 offset1:136
	v_fma_f64 v[60:61], v[60:61], v[86:87], -v[213:214]
	v_fma_f64 v[86:87], v[38:39], v[86:87], v[88:89]
	v_mul_f64_e32 v[138:139], v[48:49], v[146:147]
	v_mul_f64_e32 v[146:147], v[16:17], v[162:163]
	v_fma_f64 v[56:57], v[56:57], v[110:111], -v[80:81]
	v_fma_f64 v[114:115], v[36:37], v[118:119], v[120:121]
	v_mul_f64_e32 v[118:119], v[14:15], v[183:184]
	v_fma_f64 v[10:11], v[10:11], v[110:111], v[112:113]
	s_wait_dscnt 0x1
	v_mul_f64_e32 v[80:81], v[78:79], v[162:163]
	v_mul_f64_e32 v[104:105], v[46:47], v[166:167]
	;; [unrolled: 1-line block ×6, first 2 shown]
	v_fma_f64 v[32:33], v[32:33], v[122:123], v[124:125]
	v_mul_f64_e32 v[124:125], v[58:59], v[187:188]
	v_mul_f64_e32 v[116:117], v[2:3], v[179:180]
	v_add_f64_e32 v[166:167], v[26:27], v[102:103]
	v_fma_f64 v[48:49], v[48:49], v[144:145], -v[217:218]
	s_wait_dscnt 0x0
	v_mul_f64_e32 v[110:111], v[44:45], v[158:159]
	v_mul_f64_e32 v[122:123], v[42:43], v[179:180]
	v_fma_f64 v[70:71], v[70:71], v[148:149], -v[106:107]
	ds_load_2addr_b64 v[36:39], v237 offset0:85 offset1:102
	ds_load_b64 v[106:107], v176
	v_fma_f64 v[24:25], v[24:25], v[148:149], v[150:151]
	v_add_f64_e32 v[158:159], v[102:103], v[193:194]
	v_fma_f64 v[52:53], v[52:53], v[136:137], -v[92:93]
	v_mul_f64_e32 v[92:93], v[76:77], v[183:184]
	v_add_f64_e64 v[148:149], v[203:204], -v[172:173]
	v_fma_f64 v[98:99], v[34:35], v[140:141], v[98:99]
	v_fma_f64 v[30:31], v[30:31], v[136:137], v[100:101]
	v_fma_f64 v[34:35], v[68:69], v[152:153], -v[142:143]
	v_fma_f64 v[136:137], v[46:47], v[164:165], -v[209:210]
	v_add_f64_e64 v[150:151], v[108:109], -v[199:200]
	v_add_f64_e32 v[142:143], v[28:29], v[6:7]
	v_add_f64_e64 v[100:101], v[191:192], -v[6:7]
	v_fma_f64 v[72:73], v[72:73], v[140:141], -v[215:216]
	v_add_f64_e32 v[140:141], v[172:173], v[199:200]
	v_add_f64_e64 v[162:163], v[102:103], -v[221:222]
	v_add_f64_e64 v[170:171], v[197:198], -v[62:63]
	v_add_f64_e32 v[201:202], v[94:95], v[40:41]
	v_fma_f64 v[20:21], v[20:21], v[144:145], v[138:139]
	v_fma_f64 v[68:69], v[78:79], v[160:161], -v[146:147]
	v_add_f64_e32 v[78:79], v[64:65], v[195:196]
	v_add_f64_e64 v[144:145], v[172:173], -v[203:204]
	v_fma_f64 v[46:47], v[76:77], v[181:182], -v[118:119]
	v_fma_f64 v[76:77], v[58:59], v[185:186], -v[96:97]
	s_wait_dscnt 0x1
	v_add_f64_e32 v[96:97], v[64:65], v[38:39]
	v_fma_f64 v[16:17], v[16:17], v[160:161], v[80:81]
	v_fma_f64 v[138:139], v[18:19], v[164:165], v[104:105]
	v_fma_f64 v[18:19], v[66:67], v[168:169], -v[112:113]
	v_fma_f64 v[8:9], v[8:9], v[168:169], v[120:121]
	v_add_f64_e64 v[80:81], v[64:65], -v[0:1]
	v_add_f64_e64 v[112:113], v[0:1], -v[56:57]
	v_add_f64_e32 v[120:121], v[191:192], v[10:11]
	v_add_f64_e32 v[160:161], v[221:222], v[211:212]
	v_add_f64_e64 v[66:67], v[191:192], -v[10:11]
	v_add_f64_e64 v[104:105], v[10:11], -v[82:83]
	v_fma_f64 v[4:5], v[4:5], v[156:157], v[110:111]
	v_fma_f64 v[58:59], v[2:3], v[177:178], v[122:123]
	;; [unrolled: 1-line block ×3, first 2 shown]
	v_add_f64_e64 v[2:3], v[0:1], -v[64:65]
	v_add_f64_e64 v[12:13], v[56:57], -v[195:196]
	v_add_f64_e32 v[110:111], v[6:7], v[82:83]
	v_add_f64_e64 v[118:119], v[82:83], -v[10:11]
	v_fma_f64 v[14:15], v[14:15], v[181:182], v[92:93]
	v_add_f64_e32 v[92:93], v[0:1], v[56:57]
	v_fma_f64 v[44:45], v[44:45], v[156:157], -v[88:89]
	v_add_f64_e64 v[88:89], v[195:196], -v[56:57]
	v_add_f64_e64 v[64:65], v[64:65], -v[195:196]
	v_fma_f64 v[22:23], v[22:23], v[152:153], v[154:155]
	v_fma_f64 v[42:43], v[42:43], v[177:178], -v[116:117]
	v_add_f64_e32 v[142:143], v[191:192], v[142:143]
	v_add_f64_e64 v[116:117], v[6:7], -v[191:192]
	v_add_f64_e64 v[146:147], v[199:200], -v[108:109]
	;; [unrolled: 1-line block ×4, first 2 shown]
	v_add_f64_e32 v[124:125], v[203:204], v[108:109]
	v_add_f64_e64 v[164:165], v[193:194], -v[211:212]
	v_add_f64_e64 v[168:169], v[207:208], -v[189:190]
	v_add_f64_e32 v[176:177], v[189:190], v[62:63]
	v_add_f64_e64 v[178:179], v[189:190], -v[207:208]
	v_add_f64_e64 v[180:181], v[62:63], -v[197:198]
	v_add_f64_e32 v[182:183], v[207:208], v[197:198]
	v_add_f64_e64 v[184:185], v[90:91], -v[94:95]
	v_add_f64_e32 v[0:1], v[0:1], v[96:97]
	v_add_f64_e64 v[186:187], v[50:51], -v[40:41]
	v_add_f64_e64 v[209:210], v[94:95], -v[90:91]
	v_add_f64_e64 v[213:214], v[40:41], -v[50:51]
	v_add_f64_e32 v[215:216], v[90:91], v[50:51]
	v_add_f64_e64 v[217:218], v[205:206], -v[54:55]
	v_add_f64_e64 v[219:220], v[74:75], -v[60:61]
	;; [unrolled: 1-line block ×8, first 2 shown]
	v_add_f64_e32 v[100:101], v[100:101], v[104:105]
	v_add_f64_e64 v[104:105], v[68:69], -v[136:137]
	v_add_f64_e32 v[12:13], v[2:3], v[12:13]
	v_fma_f64 v[110:111], v[110:111], -0.5, v[28:29]
	v_fma_f64 v[28:29], v[120:121], -0.5, v[28:29]
	;; [unrolled: 1-line block ×4, first 2 shown]
	v_add_f64_e64 v[160:161], v[30:31], -v[24:25]
	v_add_f64_e64 v[2:3], v[20:21], -v[98:99]
	v_add_f64_e32 v[88:89], v[80:81], v[88:89]
	v_add_f64_e64 v[80:81], v[34:35], -v[44:45]
	v_add_f64_e32 v[148:149], v[148:149], v[150:151]
	v_add_f64_e32 v[10:11], v[142:143], v[10:11]
	;; [unrolled: 1-line block ×3, first 2 shown]
	v_add_f64_e64 v[118:119], v[44:45], -v[34:35]
	v_add_f64_e32 v[144:145], v[144:145], v[146:147]
	v_add_f64_e64 v[146:147], v[136:137], -v[68:69]
	v_add_f64_e64 v[150:151], v[22:23], -v[4:5]
	v_add_f64_e32 v[154:155], v[154:155], v[156:157]
	v_add_f64_e64 v[156:157], v[16:17], -v[138:139]
	v_add_f64_e32 v[152:153], v[203:204], v[36:37]
	v_add_f64_e64 v[237:238], v[70:71], -v[52:53]
	v_fma_f64 v[78:79], v[78:79], -0.5, v[38:39]
	v_fma_f64 v[38:39], v[92:93], -0.5, v[38:39]
	;; [unrolled: 1-line block ×3, first 2 shown]
	v_add_f64_e32 v[0:1], v[56:57], v[0:1]
	v_fma_f64 v[36:37], v[140:141], -0.5, v[36:37]
	v_add_f64_e64 v[124:125], v[72:73], -v[48:49]
	v_add_f64_e64 v[140:141], v[52:53], -v[70:71]
	v_add_f64_e64 v[96:97], v[48:49], -v[72:73]
	v_add_f64_e64 v[191:192], v[24:25], -v[30:31]
	v_add_f64_e64 v[158:159], v[98:99], -v[20:21]
	v_add_f64_e32 v[162:163], v[162:163], v[164:165]
	v_add_f64_e64 v[164:165], v[4:5], -v[22:23]
	v_add_f64_e32 v[168:169], v[168:169], v[170:171]
	v_add_f64_e64 v[170:171], v[138:139], -v[16:17]
	;; [unrolled: 2-line block ×7, first 2 shown]
	v_add_f64_e32 v[160:161], v[160:161], v[2:3]
	v_add_f64_e32 v[227:228], v[227:228], v[229:230]
	v_add_f64_e64 v[229:230], v[14:15], -v[122:123]
	v_add_f64_e64 v[56:57], v[58:59], -v[8:9]
	;; [unrolled: 1-line block ×3, first 2 shown]
	s_wait_dscnt 0x0
	v_fma_f64 v[176:177], v[176:177], -0.5, v[106:107]
	v_fma_f64 v[182:183], v[182:183], -0.5, v[106:107]
	v_add_f64_e32 v[106:107], v[189:190], v[106:107]
	v_fma_f64 v[201:202], v[201:202], -0.5, v[134:135]
	v_fma_f64 v[215:216], v[215:216], -0.5, v[134:135]
	v_add_f64_e32 v[134:135], v[134:135], v[94:95]
	v_add_f64_e64 v[239:240], v[6:7], -v[82:83]
	v_add_f64_e32 v[233:234], v[233:234], v[235:236]
	v_add_f64_e32 v[6:7], v[54:55], v[60:61]
	;; [unrolled: 1-line block ×7, first 2 shown]
	ds_load_b64 v[10:11], v175
	ds_load_b64 v[174:175], v174
	v_add_f64_e32 v[104:105], v[30:31], v[20:21]
	v_add_f64_e32 v[146:147], v[150:151], v[156:157]
	;; [unrolled: 1-line block ×23, first 2 shown]
	v_add_f64_e64 v[172:173], v[172:173], -v[199:200]
	v_add_f64_e32 v[106:107], v[207:208], v[106:107]
	v_add_f64_e64 v[221:222], v[221:222], -v[211:212]
	v_add_f64_e64 v[207:208], v[207:208], -v[197:198]
	v_add_f64_e32 v[134:135], v[90:91], v[134:135]
	v_add_f64_e64 v[90:91], v[90:91], -v[50:51]
	v_add_f64_e64 v[102:103], v[102:103], -v[193:194]
	s_wait_dscnt 0x1
	v_fma_f64 v[229:230], v[6:7], -0.5, v[10:11]
	v_fma_f64 v[235:236], v[235:236], -0.5, v[10:11]
	v_add_f64_e32 v[6:7], v[54:55], v[10:11]
	v_add_f64_e64 v[203:204], v[203:204], -v[108:109]
	v_add_f64_e64 v[94:95], v[94:95], -v[40:41]
	scratch_store_b128 off, v[0:3], off     ; 16-byte Folded Spill
	scratch_load_b32 v0, off, off offset:48 th:TH_LOAD_LU ; 4-byte Folded Reload
	v_add_f64_e64 v[188:189], v[189:190], -v[62:63]
	v_fma_f64 v[10:11], v[104:105], -0.5, v[130:131]
	v_add_f64_e64 v[243:244], v[32:33], -v[86:87]
	v_fma_f64 v[104:105], v[150:151], -0.5, v[130:131]
	v_add_f64_e32 v[130:131], v[130:131], v[30:31]
	v_add_f64_e32 v[152:153], v[199:200], v[152:153]
	v_add_f64_e64 v[54:55], v[54:55], -v[60:61]
	v_fma_f64 v[96:97], v[96:97], -0.5, v[132:133]
	v_add_f64_e64 v[30:31], v[30:31], -v[20:21]
	v_fma_f64 v[191:192], v[191:192], -0.5, v[132:133]
	v_add_f64_e32 v[132:133], v[132:133], v[32:33]
	v_add_f64_e64 v[245:246], v[4:5], -v[138:139]
	v_add_f64_e64 v[247:248], v[34:35], -v[68:69]
	v_mad_co_u64_u32 v[2:3], null, s8, v232, 0
	v_fma_f64 v[180:181], v[180:181], -0.5, v[128:129]
	v_fma_f64 v[213:214], v[213:214], -0.5, v[128:129]
	v_add_f64_e32 v[128:129], v[128:129], v[4:5]
	v_add_f64_e32 v[166:167], v[166:167], v[211:212]
	;; [unrolled: 1-line block ×5, first 2 shown]
	v_add_f64_e64 v[58:59], v[58:59], -v[122:123]
	v_add_f64_e32 v[50:51], v[134:135], v[50:51]
	v_add_f64_e32 v[134:135], v[8:9], v[14:15]
	;; [unrolled: 1-line block ×3, first 2 shown]
	v_add_f64_e64 v[24:25], v[24:25], -v[98:99]
	v_add_f64_e32 v[132:133], v[84:85], v[132:133]
	v_add_f64_e64 v[84:85], v[84:85], -v[114:115]
	v_add_f64_e32 v[128:129], v[22:23], v[128:129]
	v_add_f64_e32 v[4:5], v[166:167], v[193:194]
	v_add_f64_e32 v[211:212], v[8:9], v[211:212]
	s_wait_alu 0xfffe
	v_fma_f64 v[166:167], v[90:91], s[6:7], v[176:177]
	v_add_f64_e64 v[22:23], v[22:23], -v[16:17]
	v_add_f64_e64 v[8:9], v[8:9], -v[14:15]
	v_fma_f64 v[197:198], v[197:198], -0.5, v[126:127]
	v_add_f64_e32 v[32:33], v[50:51], v[40:41]
	v_fma_f64 v[40:41], v[64:65], s[4:5], v[28:29]
	v_fma_f64 v[28:29], v[64:65], s[6:7], v[28:29]
	;; [unrolled: 1-line block ×3, first 2 shown]
	v_fma_f64 v[126:127], v[134:135], -0.5, v[126:127]
	v_fma_f64 v[134:135], v[66:67], s[4:5], v[78:79]
	v_fma_f64 v[78:79], v[66:67], s[6:7], v[78:79]
	v_add_f64_e32 v[98:99], v[130:131], v[98:99]
	v_fma_f64 v[130:131], v[90:91], s[4:5], v[176:177]
	v_fma_f64 v[176:177], v[94:95], s[4:5], v[182:183]
	v_add_f64_e32 v[128:129], v[128:129], v[16:17]
	v_fma_f64 v[16:17], v[207:208], s[6:7], v[201:202]
	v_fma_f64 v[40:41], v[112:113], s[2:3], v[40:41]
	v_fma_f64 v[28:29], v[112:113], s[0:1], v[28:29]
	v_fma_f64 v[50:51], v[102:103], s[0:1], v[50:51]
	v_fma_f64 v[134:135], v[239:240], s[0:1], v[134:135]
	v_fma_f64 v[130:131], v[94:95], s[0:1], v[130:131]
	s_wait_loadcnt 0x0
	ds_load_b64 v[195:196], v0
	scratch_load_b32 v0, off, off offset:20 th:TH_LOAD_LU ; 4-byte Folded Reload
	s_wait_dscnt 0x1
	v_fma_f64 v[150:151], v[237:238], -0.5, v[174:175]
	v_fma_f64 v[80:81], v[80:81], -0.5, v[174:175]
	v_add_f64_e32 v[174:175], v[52:53], v[174:175]
	v_add_f64_e32 v[237:238], v[205:206], v[6:7]
	v_add_f64_e64 v[205:206], v[205:206], -v[74:75]
	v_add_f64_e32 v[6:7], v[108:109], v[152:153]
	v_fma_f64 v[108:109], v[239:240], s[6:7], v[38:39]
	v_fma_f64 v[38:39], v[239:240], s[4:5], v[38:39]
	;; [unrolled: 1-line block ×4, first 2 shown]
	v_add_f64_e64 v[52:53], v[52:53], -v[48:49]
	s_wait_dscnt 0x0
	v_fma_f64 v[164:165], v[164:165], -0.5, v[195:196]
	v_fma_f64 v[225:226], v[225:226], -0.5, v[195:196]
	v_add_f64_e32 v[195:196], v[44:45], v[195:196]
	v_add_f64_e64 v[44:45], v[44:45], -v[136:137]
	v_fma_f64 v[112:113], v[24:25], s[4:5], v[150:151]
	v_fma_f64 v[150:151], v[24:25], s[6:7], v[150:151]
	v_add_f64_e32 v[174:175], v[70:71], v[174:175]
	v_add_f64_e64 v[70:71], v[70:71], -v[72:73]
	v_add_f64_e32 v[74:75], v[74:75], v[237:238]
	v_fma_f64 v[108:109], v[66:67], s[0:1], v[108:109]
	v_fma_f64 v[38:39], v[66:67], s[2:3], v[38:39]
	;; [unrolled: 1-line block ×8, first 2 shown]
	v_add_f64_e32 v[195:196], v[34:35], v[195:196]
	v_add_f64_e32 v[34:35], v[62:63], v[106:107]
	v_fma_f64 v[62:63], v[221:222], s[6:7], v[92:93]
	v_fma_f64 v[92:93], v[102:103], s[6:7], v[36:37]
	;; [unrolled: 1-line block ×3, first 2 shown]
	v_add_f64_e32 v[106:107], v[132:133], v[114:115]
	v_fma_f64 v[114:115], v[172:173], s[6:7], v[120:121]
	v_fma_f64 v[120:121], v[172:173], s[4:5], v[120:121]
	v_fma_f64 v[132:133], v[203:204], s[4:5], v[26:27]
	v_fma_f64 v[26:27], v[203:204], s[6:7], v[26:27]
	v_add_f64_e32 v[72:73], v[72:73], v[174:175]
	v_fma_f64 v[237:238], v[54:55], s[2:3], v[66:67]
	v_fma_f64 v[96:97], v[54:55], s[0:1], v[96:97]
	v_add_f64_e32 v[66:67], v[60:61], v[74:75]
	v_fma_f64 v[190:191], v[205:206], s[0:1], v[190:191]
	v_add_f64_e32 v[174:175], v[68:69], v[195:196]
	v_fma_f64 v[68:69], v[94:95], s[6:7], v[182:183]
	v_fma_f64 v[182:183], v[207:208], s[4:5], v[201:202]
	;; [unrolled: 1-line block ×37, first 2 shown]
	s_wait_loadcnt 0x0
	ds_load_b64 v[199:200], v0
	s_wait_dscnt 0x0
	v_fma_f64 v[56:57], v[56:57], -0.5, v[199:200]
	v_fma_f64 v[82:83], v[82:83], -0.5, v[199:200]
	v_add_f64_e32 v[199:200], v[42:43], v[199:200]
	v_add_f64_e64 v[42:43], v[42:43], -v[76:77]
	s_delay_alu instid0(VALU_DEP_2) | instskip(SKIP_1) | instid1(VALU_DEP_3)
	v_add_f64_e32 v[199:200], v[18:19], v[199:200]
	v_add_f64_e64 v[18:19], v[18:19], -v[46:47]
	v_fma_f64 v[54:55], v[42:43], s[4:5], v[126:127]
	v_fma_f64 v[126:127], v[42:43], s[6:7], v[126:127]
	s_delay_alu instid0(VALU_DEP_4)
	v_add_f64_e32 v[193:194], v[46:47], v[199:200]
	v_fma_f64 v[46:47], v[188:189], s[4:5], v[215:216]
	v_add_f64_e32 v[199:200], v[211:212], v[14:15]
	v_fma_f64 v[14:15], v[84:85], s[4:5], v[229:230]
	v_fma_f64 v[211:212], v[239:240], s[2:3], v[78:79]
	;; [unrolled: 1-line block ×8, first 2 shown]
	v_add_f64_e32 v[64:65], v[106:107], v[86:87]
	v_fma_f64 v[86:87], v[30:31], s[0:1], v[112:113]
	v_fma_f64 v[112:113], v[24:25], s[2:3], v[80:81]
	;; [unrolled: 1-line block ×7, first 2 shown]
	v_add_f64_e32 v[80:81], v[48:49], v[72:73]
	v_fma_f64 v[205:206], v[52:53], s[0:1], v[10:11]
	v_fma_f64 v[213:214], v[207:208], s[2:3], v[46:47]
	;; [unrolled: 1-line block ×10, first 2 shown]
	s_mov_b32 s4, 0x372fe950
	s_mov_b32 s5, 0x3fd3c6ef
	v_fma_f64 v[56:57], v[8:9], s[6:7], v[56:57]
	v_add_f64_e32 v[78:79], v[98:99], v[20:21]
	v_fma_f64 v[243:244], v[247:248], s[2:3], v[16:17]
	s_wait_alu 0xfffe
	v_fma_f64 v[18:19], v[12:13], s[4:5], v[211:212]
	v_fma_f64 v[16:17], v[100:101], s[4:5], v[110:111]
	;; [unrolled: 1-line block ×4, first 2 shown]
	v_add_f64_e32 v[126:127], v[199:200], v[122:123]
	v_fma_f64 v[26:27], v[148:149], s[4:5], v[92:93]
	v_fma_f64 v[72:73], v[227:228], s[4:5], v[96:97]
	;; [unrolled: 1-line block ×6, first 2 shown]
	v_add_nc_u32_e32 v146, 0x77, v232
	v_fma_f64 v[10:11], v[88:89], s[4:5], v[108:109]
	v_fma_f64 v[22:23], v[88:89], s[4:5], v[38:39]
	;; [unrolled: 1-line block ×6, first 2 shown]
	v_mad_co_u64_u32 v[144:145], null, s8, v146, 0
	v_add_nc_u32_e32 v150, 0xee, v232
	v_fma_f64 v[24:25], v[162:163], s[4:5], v[132:133]
	v_fma_f64 v[50:51], v[168:169], s[4:5], v[130:131]
	;; [unrolled: 1-line block ×14, first 2 shown]
	v_add_f64_e32 v[118:119], v[128:129], v[138:139]
	v_add_f64_e32 v[128:129], v[76:77], v[193:194]
	v_mad_co_u64_u32 v[76:77], null, s9, v232, v[3:4]
	v_fma_f64 v[247:248], v[58:59], s[2:3], v[56:57]
	v_fma_f64 v[197:198], v[42:43], s[0:1], v[197:198]
	;; [unrolled: 1-line block ×5, first 2 shown]
	v_mad_co_u64_u32 v[142:143], null, s8, v150, 0
	v_mov_b32_e32 v3, v76
	scratch_load_b64 v[76:77], off, off offset:52 th:TH_LOAD_LU ; 8-byte Folded Reload
	v_mov_b32_e32 v0, v145
	v_add_nc_u32_e32 v152, 0x1dc, v232
	v_fma_f64 v[42:43], v[148:149], s[4:5], v[36:37]
	v_lshlrev_b64_e32 v[1:2], 4, v[2:3]
	v_fma_f64 v[36:37], v[154:155], s[4:5], v[120:121]
	v_add_f64_e32 v[120:121], v[136:137], v[174:175]
	v_mad_co_u64_u32 v[148:149], null, s8, v152, 0
	v_fma_f64 v[114:115], v[156:157], s[4:5], v[188:189]
	v_mad_co_u64_u32 v[145:146], null, s9, v146, v[0:1]
	v_dual_mov_b32 v0, v143 :: v_dual_add_nc_u32 v143, 0x165, v232
	v_fma_f64 v[104:105], v[241:242], s[4:5], v[221:222]
	v_fma_f64 v[110:111], v[156:157], s[4:5], v[243:244]
	;; [unrolled: 1-line block ×4, first 2 shown]
	v_mad_co_u64_u32 v[146:147], null, s8, v143, 0
	v_fma_f64 v[140:141], v[186:187], s[4:5], v[251:252]
	v_fma_f64 v[136:137], v[186:187], s[4:5], v[249:250]
	v_fma_f64 v[90:91], v[158:159], s[4:5], v[205:206]
	v_fma_f64 v[54:55], v[168:169], s[4:5], v[94:95]
	v_fma_f64 v[94:95], v[160:161], s[4:5], v[203:204]
	v_fma_f64 v[84:85], v[223:224], s[4:5], v[84:85]
	v_fma_f64 v[82:83], v[233:234], s[4:5], v[190:191]
	v_fma_f64 v[74:75], v[217:218], s[4:5], v[201:202]
	v_fma_f64 v[62:63], v[217:218], s[4:5], v[207:208]
	v_fma_f64 v[60:61], v[227:228], s[4:5], v[237:238]
	v_fma_f64 v[132:133], v[170:171], s[4:5], v[247:248]
	v_fma_f64 v[130:131], v[219:220], s[4:5], v[197:198]
	v_fma_f64 v[122:123], v[219:220], s[4:5], v[215:216]
	v_fma_f64 v[46:47], v[178:179], s[4:5], v[68:69]
	v_fma_f64 v[70:71], v[223:224], s[4:5], v[235:236]
	v_fma_f64 v[68:69], v[233:234], s[4:5], v[239:240]
	v_fma_f64 v[56:57], v[209:210], s[4:5], v[195:196]
	v_fma_f64 v[52:53], v[184:185], s[4:5], v[182:183]
	v_fma_f64 v[48:49], v[184:185], s[4:5], v[229:230]
	v_fma_f64 v[44:45], v[209:210], s[4:5], v[213:214]
	v_fma_f64 v[40:41], v[162:163], s[4:5], v[172:173]
	s_wait_loadcnt 0x0
	v_add_co_u32 v76, vcc_lo, s10, v76
	s_wait_alu 0xfffd
	v_add_co_ci_u32_e32 v77, vcc_lo, s11, v77, vcc_lo
	s_delay_alu instid0(VALU_DEP_2) | instskip(SKIP_1) | instid1(VALU_DEP_2)
	v_add_co_u32 v1, vcc_lo, v76, v1
	s_wait_alu 0xfffd
	v_add_co_ci_u32_e32 v2, vcc_lo, v77, v2, vcc_lo
	s_delay_alu instid0(VALU_DEP_2) | instskip(SKIP_4) | instid1(VALU_DEP_2)
	v_mad_co_u64_u32 v[150:151], null, s9, v150, v[0:1]
	v_mov_b32_e32 v0, v147
	global_store_b128 v[1:2], v[126:129], off
	v_mov_b32_e32 v1, v149
	v_lshlrev_b64_e32 v[2:3], 4, v[144:145]
	v_mad_co_u64_u32 v[126:127], null, s9, v143, v[0:1]
	v_mov_b32_e32 v143, v150
	s_delay_alu instid0(VALU_DEP_3) | instskip(SKIP_1) | instid1(VALU_DEP_3)
	v_mad_co_u64_u32 v[0:1], null, s9, v152, v[1:2]
	v_add_co_u32 v1, vcc_lo, v76, v2
	v_lshlrev_b64_e32 v[127:128], 4, v[142:143]
	v_mov_b32_e32 v147, v126
	s_wait_alu 0xfffd
	v_add_co_ci_u32_e32 v2, vcc_lo, v77, v3, vcc_lo
	v_mov_b32_e32 v149, v0
	v_add_nc_u32_e32 v3, 17, v232
	v_add_co_u32 v126, vcc_lo, v76, v127
	s_wait_alu 0xfffd
	v_add_co_ci_u32_e32 v127, vcc_lo, v77, v128, vcc_lo
	v_lshlrev_b64_e32 v[128:129], 4, v[146:147]
	v_lshlrev_b64_e32 v[144:145], 4, v[148:149]
	v_mad_co_u64_u32 v[142:143], null, s8, v3, 0
	v_add_nc_u32_e32 v150, 0x88, v232
	v_add_nc_u32_e32 v152, 0xff, v232
	v_add_co_u32 v128, vcc_lo, v76, v128
	s_wait_alu 0xfffd
	v_add_co_ci_u32_e32 v129, vcc_lo, v77, v129, vcc_lo
	v_add_co_u32 v144, vcc_lo, v76, v144
	s_wait_alu 0xfffd
	v_add_co_ci_u32_e32 v145, vcc_lo, v77, v145, vcc_lo
	s_clause 0x3
	global_store_b128 v[1:2], v[138:141], off
	global_store_b128 v[126:127], v[130:133], off
	;; [unrolled: 1-line block ×4, first 2 shown]
	scratch_load_b32 v132, off, off offset:632 th:TH_LOAD_LU ; 4-byte Folded Reload
	v_mad_co_u64_u32 v[146:147], null, s8, v150, 0
	v_mov_b32_e32 v0, v143
	v_add_nc_u32_e32 v128, 0x176, v232
	v_add_nc_u32_e32 v130, 0x1ed, v232
	s_delay_alu instid0(VALU_DEP_3) | instskip(SKIP_1) | instid1(VALU_DEP_4)
	v_mad_co_u64_u32 v[148:149], null, s9, v3, v[0:1]
	v_mov_b32_e32 v0, v147
	v_mad_co_u64_u32 v[122:123], null, s8, v128, 0
	s_delay_alu instid0(VALU_DEP_4) | instskip(NEXT) | instid1(VALU_DEP_3)
	v_mad_co_u64_u32 v[126:127], null, s8, v130, 0
	v_mad_co_u64_u32 v[149:150], null, s9, v150, v[0:1]
	;; [unrolled: 1-line block ×3, first 2 shown]
	v_mov_b32_e32 v143, v148
	s_delay_alu instid0(VALU_DEP_3) | instskip(NEXT) | instid1(VALU_DEP_2)
	v_mov_b32_e32 v147, v149
	v_lshlrev_b64_e32 v[0:1], 4, v[142:143]
	s_delay_alu instid0(VALU_DEP_4) | instskip(NEXT) | instid1(VALU_DEP_3)
	v_mov_b32_e32 v2, v151
	v_lshlrev_b64_e32 v[124:125], 4, v[146:147]
	s_delay_alu instid0(VALU_DEP_2) | instskip(NEXT) | instid1(VALU_DEP_4)
	v_mad_co_u64_u32 v[2:3], null, s9, v152, v[2:3]
	v_add_co_u32 v0, vcc_lo, v76, v0
	s_wait_alu 0xfffd
	v_add_co_ci_u32_e32 v1, vcc_lo, v77, v1, vcc_lo
	v_mov_b32_e32 v3, v123
	v_add_co_u32 v123, vcc_lo, v76, v124
	v_mov_b32_e32 v151, v2
	s_wait_alu 0xfffd
	v_add_co_ci_u32_e32 v124, vcc_lo, v77, v125, vcc_lo
	s_clause 0x1
	global_store_b128 v[0:1], v[118:121], off
	global_store_b128 v[123:124], v[114:117], off
	v_lshlrev_b64_e32 v[1:2], 4, v[150:151]
	v_mov_b32_e32 v0, v127
	v_mad_co_u64_u32 v[128:129], null, s9, v128, v[3:4]
	s_delay_alu instid0(VALU_DEP_2) | instskip(SKIP_1) | instid1(VALU_DEP_3)
	v_mad_co_u64_u32 v[114:115], null, s9, v130, v[0:1]
	v_add_co_u32 v0, vcc_lo, v76, v1
	v_mov_b32_e32 v123, v128
	s_wait_alu 0xfffd
	v_add_co_ci_u32_e32 v1, vcc_lo, v77, v2, vcc_lo
	s_delay_alu instid0(VALU_DEP_4) | instskip(NEXT) | instid1(VALU_DEP_1)
	v_mov_b32_e32 v127, v114
	v_lshlrev_b64_e32 v[119:120], 4, v[126:127]
	s_wait_loadcnt 0x0
	v_mul_hi_u32 v131, 0x44d72045, v132
	s_delay_alu instid0(VALU_DEP_1) | instskip(NEXT) | instid1(VALU_DEP_1)
	v_lshrrev_b32_e32 v3, 5, v131
	v_mad_u32_u24 v125, 0x1dc, v3, v132
	v_lshlrev_b64_e32 v[2:3], 4, v[122:123]
	s_delay_alu instid0(VALU_DEP_2) | instskip(SKIP_1) | instid1(VALU_DEP_3)
	v_mad_co_u64_u32 v[115:116], null, s8, v125, 0
	v_add_nc_u32_e32 v124, 0x77, v125
	v_add_co_u32 v2, vcc_lo, v76, v2
	s_wait_alu 0xfffd
	s_delay_alu instid0(VALU_DEP_4) | instskip(NEXT) | instid1(VALU_DEP_3)
	v_add_co_ci_u32_e32 v3, vcc_lo, v77, v3, vcc_lo
	v_mad_co_u64_u32 v[117:118], null, s8, v124, 0
	v_mov_b32_e32 v114, v116
	v_add_nc_u32_e32 v126, 0xee, v125
	s_delay_alu instid0(VALU_DEP_2) | instskip(NEXT) | instid1(VALU_DEP_4)
	v_mad_co_u64_u32 v[121:122], null, s9, v125, v[114:115]
	v_mov_b32_e32 v114, v118
	v_add_co_u32 v118, vcc_lo, v76, v119
	s_wait_alu 0xfffd
	v_add_co_ci_u32_e32 v119, vcc_lo, v77, v120, vcc_lo
	s_clause 0x2
	global_store_b128 v[0:1], v[106:109], off
	global_store_b128 v[2:3], v[102:105], off
	;; [unrolled: 1-line block ×3, first 2 shown]
	scratch_load_b32 v112, off, off offset:628 th:TH_LOAD_LU ; 4-byte Folded Reload
	v_mad_co_u64_u32 v[122:123], null, s9, v124, v[114:115]
	v_mad_co_u64_u32 v[123:124], null, s8, v126, 0
	v_mov_b32_e32 v116, v121
	v_add_nc_u32_e32 v108, 0x165, v125
	v_add_nc_u32_e32 v110, 0x1dc, v125
	v_mov_b32_e32 v118, v122
	s_delay_alu instid0(VALU_DEP_4) | instskip(SKIP_2) | instid1(VALU_DEP_4)
	v_lshlrev_b64_e32 v[0:1], 4, v[115:116]
	v_mov_b32_e32 v2, v124
	v_mad_co_u64_u32 v[102:103], null, s8, v108, 0
	v_lshlrev_b64_e32 v[104:105], 4, v[117:118]
	v_mad_co_u64_u32 v[106:107], null, s8, v110, 0
	s_delay_alu instid0(VALU_DEP_4)
	v_mad_co_u64_u32 v[2:3], null, s9, v126, v[2:3]
	v_add_co_u32 v0, vcc_lo, v76, v0
	s_wait_alu 0xfffd
	v_add_co_ci_u32_e32 v1, vcc_lo, v77, v1, vcc_lo
	v_mov_b32_e32 v3, v103
	v_add_co_u32 v103, vcc_lo, v76, v104
	v_mov_b32_e32 v124, v2
	s_wait_alu 0xfffd
	v_add_co_ci_u32_e32 v104, vcc_lo, v77, v105, vcc_lo
	s_clause 0x1
	global_store_b128 v[0:1], v[78:81], off
	global_store_b128 v[103:104], v[98:101], off
	v_lshlrev_b64_e32 v[1:2], 4, v[123:124]
	v_mad_co_u64_u32 v[108:109], null, s9, v108, v[3:4]
	v_mov_b32_e32 v0, v107
	s_delay_alu instid0(VALU_DEP_1) | instskip(NEXT) | instid1(VALU_DEP_3)
	v_mad_co_u64_u32 v[78:79], null, s9, v110, v[0:1]
	v_mov_b32_e32 v103, v108
	v_add_co_u32 v0, vcc_lo, v76, v1
	s_wait_alu 0xfffd
	v_add_co_ci_u32_e32 v1, vcc_lo, v77, v2, vcc_lo
	s_delay_alu instid0(VALU_DEP_4) | instskip(SKIP_2) | instid1(VALU_DEP_1)
	v_mov_b32_e32 v107, v78
	s_wait_loadcnt 0x0
	v_mul_hi_u32 v111, 0x44d72045, v112
	v_lshrrev_b32_e32 v3, 5, v111
	s_delay_alu instid0(VALU_DEP_1) | instskip(SKIP_1) | instid1(VALU_DEP_2)
	v_mad_u32_u24 v109, 0x1dc, v3, v112
	v_lshlrev_b64_e32 v[2:3], 4, v[102:103]
	v_mad_co_u64_u32 v[79:80], null, s8, v109, 0
	s_delay_alu instid0(VALU_DEP_2) | instskip(SKIP_1) | instid1(VALU_DEP_3)
	v_add_co_u32 v2, vcc_lo, v76, v2
	s_wait_alu 0xfffd
	v_add_co_ci_u32_e32 v3, vcc_lo, v77, v3, vcc_lo
	v_add_nc_u32_e32 v104, 0x77, v109
	s_delay_alu instid0(VALU_DEP_4) | instskip(SKIP_2) | instid1(VALU_DEP_4)
	v_mov_b32_e32 v78, v80
	v_lshlrev_b64_e32 v[80:81], 4, v[106:107]
	v_add_nc_u32_e32 v106, 0xee, v109
	v_mad_co_u64_u32 v[98:99], null, s8, v104, 0
	s_delay_alu instid0(VALU_DEP_4) | instskip(NEXT) | instid1(VALU_DEP_4)
	v_mad_co_u64_u32 v[100:101], null, s9, v109, v[78:79]
	v_add_co_u32 v101, vcc_lo, v76, v80
	s_wait_alu 0xfffd
	v_add_co_ci_u32_e32 v102, vcc_lo, v77, v81, vcc_lo
	s_clause 0x2
	global_store_b128 v[0:1], v[90:93], off
	global_store_b128 v[2:3], v[86:89], off
	;; [unrolled: 1-line block ×3, first 2 shown]
	scratch_load_b32 v92, off, off offset:624 th:TH_LOAD_LU ; 4-byte Folded Reload
	v_mov_b32_e32 v78, v99
	v_mov_b32_e32 v80, v100
	v_add_nc_u32_e32 v88, 0x165, v109
	v_add_nc_u32_e32 v90, 0x1dc, v109
	s_delay_alu instid0(VALU_DEP_4) | instskip(SKIP_4) | instid1(VALU_DEP_4)
	v_mad_co_u64_u32 v[103:104], null, s9, v104, v[78:79]
	v_mad_co_u64_u32 v[104:105], null, s8, v106, 0
	v_lshlrev_b64_e32 v[0:1], 4, v[79:80]
	v_mad_co_u64_u32 v[78:79], null, s8, v88, 0
	v_mad_co_u64_u32 v[86:87], null, s8, v90, 0
	v_dual_mov_b32 v99, v103 :: v_dual_mov_b32 v2, v105
	s_delay_alu instid0(VALU_DEP_4) | instskip(SKIP_2) | instid1(VALU_DEP_3)
	v_add_co_u32 v0, vcc_lo, v76, v0
	s_wait_alu 0xfffd
	v_add_co_ci_u32_e32 v1, vcc_lo, v77, v1, vcc_lo
	v_mad_co_u64_u32 v[2:3], null, s9, v106, v[2:3]
	v_lshlrev_b64_e32 v[80:81], 4, v[98:99]
	v_mov_b32_e32 v3, v79
	s_delay_alu instid0(VALU_DEP_2) | instskip(NEXT) | instid1(VALU_DEP_4)
	v_add_co_u32 v79, vcc_lo, v76, v80
	v_mov_b32_e32 v105, v2
	s_wait_alu 0xfffd
	s_delay_alu instid0(VALU_DEP_4)
	v_add_co_ci_u32_e32 v80, vcc_lo, v77, v81, vcc_lo
	v_mad_co_u64_u32 v[88:89], null, s9, v88, v[3:4]
	s_clause 0x1
	global_store_b128 v[0:1], v[64:67], off
	global_store_b128 v[79:80], v[82:85], off
	v_lshlrev_b64_e32 v[1:2], 4, v[104:105]
	v_dual_mov_b32 v0, v87 :: v_dual_mov_b32 v79, v88
	s_delay_alu instid0(VALU_DEP_1) | instskip(SKIP_2) | instid1(VALU_DEP_4)
	v_mad_co_u64_u32 v[64:65], null, s9, v90, v[0:1]
	v_add_co_u32 v0, vcc_lo, v76, v1
	s_wait_alu 0xfffd
	v_add_co_ci_u32_e32 v1, vcc_lo, v77, v2, vcc_lo
	s_delay_alu instid0(VALU_DEP_3) | instskip(SKIP_2) | instid1(VALU_DEP_1)
	v_mov_b32_e32 v87, v64
	s_wait_loadcnt 0x0
	v_mul_hi_u32 v91, 0x44d72045, v92
	v_lshrrev_b32_e32 v3, 5, v91
	s_delay_alu instid0(VALU_DEP_1) | instskip(SKIP_1) | instid1(VALU_DEP_2)
	v_mad_u32_u24 v89, 0x1dc, v3, v92
	v_lshlrev_b64_e32 v[2:3], 4, v[78:79]
	v_mad_co_u64_u32 v[65:66], null, s8, v89, 0
	v_add_nc_u32_e32 v83, 0x77, v89
	s_delay_alu instid0(VALU_DEP_3) | instskip(SKIP_1) | instid1(VALU_DEP_4)
	v_add_co_u32 v2, vcc_lo, v76, v2
	s_wait_alu 0xfffd
	v_add_co_ci_u32_e32 v3, vcc_lo, v77, v3, vcc_lo
	s_delay_alu instid0(VALU_DEP_3) | instskip(SKIP_3) | instid1(VALU_DEP_3)
	v_mad_co_u64_u32 v[78:79], null, s8, v83, 0
	v_mov_b32_e32 v64, v66
	v_lshlrev_b64_e32 v[66:67], 4, v[86:87]
	v_add_nc_u32_e32 v86, 0xee, v89
	v_mad_co_u64_u32 v[80:81], null, s9, v89, v[64:65]
	v_mov_b32_e32 v64, v79
	s_delay_alu instid0(VALU_DEP_4) | instskip(SKIP_2) | instid1(VALU_DEP_3)
	v_add_co_u32 v81, vcc_lo, v76, v66
	s_wait_alu 0xfffd
	v_add_co_ci_u32_e32 v82, vcc_lo, v77, v67, vcc_lo
	v_mad_co_u64_u32 v[83:84], null, s9, v83, v[64:65]
	v_mad_co_u64_u32 v[84:85], null, s8, v86, 0
	v_dual_mov_b32 v66, v80 :: v_dual_add_nc_u32 v67, 0x165, v89
	s_clause 0x2
	global_store_b128 v[0:1], v[72:75], off
	global_store_b128 v[2:3], v[60:63], off
	;; [unrolled: 1-line block ×3, first 2 shown]
	v_dual_mov_b32 v79, v83 :: v_dual_add_nc_u32 v68, 0x1dc, v89
	v_lshlrev_b64_e32 v[0:1], 4, v[65:66]
	v_mov_b32_e32 v2, v85
	v_mad_co_u64_u32 v[60:61], null, s8, v67, 0
	s_delay_alu instid0(VALU_DEP_4) | instskip(SKIP_1) | instid1(VALU_DEP_4)
	v_lshlrev_b64_e32 v[62:63], 4, v[78:79]
	v_mad_co_u64_u32 v[64:65], null, s8, v68, 0
	v_mad_co_u64_u32 v[2:3], null, s9, v86, v[2:3]
	v_add_co_u32 v0, vcc_lo, v76, v0
	s_wait_alu 0xfffd
	v_add_co_ci_u32_e32 v1, vcc_lo, v77, v1, vcc_lo
	v_mul_hi_u32 v69, 0x44d72045, v255
	v_mov_b32_e32 v3, v61
	v_add_co_u32 v61, vcc_lo, v76, v62
	v_mov_b32_e32 v85, v2
	s_wait_alu 0xfffd
	v_add_co_ci_u32_e32 v62, vcc_lo, v77, v63, vcc_lo
	v_mad_co_u64_u32 v[66:67], null, s9, v67, v[3:4]
	s_clause 0x1
	global_store_b128 v[0:1], v[32:35], off
	global_store_b128 v[61:62], v[56:59], off
	v_lshlrev_b64_e32 v[1:2], 4, v[84:85]
	v_lshrrev_b32_e32 v3, 5, v69
	v_dual_mov_b32 v0, v65 :: v_dual_mov_b32 v61, v66
	s_delay_alu instid0(VALU_DEP_2) | instskip(NEXT) | instid1(VALU_DEP_2)
	v_mad_u32_u24 v62, 0x1dc, v3, v255
	v_mad_co_u64_u32 v[32:33], null, s9, v68, v[0:1]
	v_add_co_u32 v0, vcc_lo, v76, v1
	s_delay_alu instid0(VALU_DEP_3)
	v_mad_co_u64_u32 v[33:34], null, s8, v62, 0
	v_add_nc_u32_e32 v63, 0x77, v62
	s_wait_alu 0xfffd
	v_add_co_ci_u32_e32 v1, vcc_lo, v77, v2, vcc_lo
	v_lshlrev_b64_e32 v[2:3], 4, v[60:61]
	v_mov_b32_e32 v65, v32
	v_mad_co_u64_u32 v[56:57], null, s8, v63, 0
	v_mov_b32_e32 v32, v34
	s_delay_alu instid0(VALU_DEP_4) | instskip(NEXT) | instid1(VALU_DEP_4)
	v_add_co_u32 v2, vcc_lo, v76, v2
	v_lshlrev_b64_e32 v[34:35], 4, v[64:65]
	s_wait_alu 0xfffd
	v_add_co_ci_u32_e32 v3, vcc_lo, v77, v3, vcc_lo
	s_clause 0x1
	global_store_b128 v[0:1], v[52:55], off
	global_store_b128 v[2:3], v[48:51], off
	v_mov_b32_e32 v0, v57
	v_add_co_u32 v1, vcc_lo, v76, v34
	v_mad_co_u64_u32 v[58:59], null, s9, v62, v[32:33]
	s_wait_alu 0xfffd
	v_add_co_ci_u32_e32 v2, vcc_lo, v77, v35, vcc_lo
	s_delay_alu instid0(VALU_DEP_3)
	v_mad_co_u64_u32 v[48:49], null, s9, v63, v[0:1]
	v_add_nc_u32_e32 v49, 0xee, v62
	global_store_b128 v[1:2], v[44:47], off
	v_mov_b32_e32 v34, v58
	v_add_nc_u32_e32 v46, 0x165, v62
	v_mad_co_u64_u32 v[2:3], null, s8, v49, 0
	v_mov_b32_e32 v57, v48
	s_delay_alu instid0(VALU_DEP_4) | instskip(NEXT) | instid1(VALU_DEP_4)
	v_lshlrev_b64_e32 v[0:1], 4, v[33:34]
	v_mad_co_u64_u32 v[32:33], null, s8, v46, 0
	v_add_nc_u32_e32 v48, 0x1dc, v62
	s_delay_alu instid0(VALU_DEP_4) | instskip(SKIP_4) | instid1(VALU_DEP_4)
	v_lshlrev_b64_e32 v[34:35], 4, v[56:57]
	v_mad_co_u64_u32 v[44:45], null, s9, v49, v[3:4]
	v_add_co_u32 v0, vcc_lo, v76, v0
	s_wait_alu 0xfffd
	v_add_co_ci_u32_e32 v1, vcc_lo, v77, v1, vcc_lo
	v_mad_co_u64_u32 v[45:46], null, s9, v46, v[33:34]
	v_mad_co_u64_u32 v[46:47], null, s8, v48, 0
	v_mov_b32_e32 v3, v44
	v_mul_hi_u32 v44, 0x44d72045, v231
	global_store_b128 v[0:1], v[4:7], off
	v_add_co_u32 v34, vcc_lo, v76, v34
	v_lshlrev_b64_e32 v[1:2], 4, v[2:3]
	v_dual_mov_b32 v0, v47 :: v_dual_mov_b32 v33, v45
	s_wait_alu 0xfffd
	v_add_co_ci_u32_e32 v35, vcc_lo, v77, v35, vcc_lo
	s_delay_alu instid0(VALU_DEP_2)
	v_mad_co_u64_u32 v[5:6], null, s9, v48, v[0:1]
	v_lshrrev_b32_e32 v6, 5, v44
	v_lshlrev_b64_e32 v[3:4], 4, v[32:33]
	v_add_co_u32 v0, vcc_lo, v76, v1
	s_wait_alu 0xfffd
	v_add_co_ci_u32_e32 v1, vcc_lo, v77, v2, vcc_lo
	v_mad_u32_u24 v32, 0x1dc, v6, v231
	s_delay_alu instid0(VALU_DEP_4)
	v_add_co_u32 v2, vcc_lo, v76, v3
	global_store_b128 v[34:35], v[40:43], off
	s_wait_alu 0xfffd
	v_add_co_ci_u32_e32 v3, vcc_lo, v77, v4, vcc_lo
	v_add_nc_u32_e32 v34, 0xee, v32
	v_add_nc_u32_e32 v33, 0x77, v32
	v_mov_b32_e32 v47, v5
	v_mad_co_u64_u32 v[4:5], null, s8, v32, 0
	s_delay_alu instid0(VALU_DEP_4)
	v_mad_co_u64_u32 v[6:7], null, s8, v34, 0
	s_clause 0x1
	global_store_b128 v[0:1], v[36:39], off
	global_store_b128 v[2:3], v[28:31], off
	v_mad_co_u64_u32 v[2:3], null, s8, v33, 0
	v_lshlrev_b64_e32 v[0:1], 4, v[46:47]
	v_add_nc_u32_e32 v35, 0x165, v32
	v_mad_co_u64_u32 v[28:29], null, s9, v32, v[5:6]
	v_add_nc_u32_e32 v36, 0x1dc, v32
	v_mad_co_u64_u32 v[29:30], null, s9, v33, v[3:4]
	v_add_co_u32 v0, vcc_lo, v76, v0
	s_wait_alu 0xfffd
	v_add_co_ci_u32_e32 v1, vcc_lo, v77, v1, vcc_lo
	v_mov_b32_e32 v3, v7
	v_mov_b32_e32 v5, v28
	v_mad_co_u64_u32 v[30:31], null, s8, v35, 0
	global_store_b128 v[0:1], v[24:27], off
	v_mad_co_u64_u32 v[32:33], null, s9, v34, v[3:4]
	v_mov_b32_e32 v3, v29
	scratch_load_b128 v[26:29], off, off th:TH_LOAD_LU ; 16-byte Folded Reload
	v_mad_co_u64_u32 v[33:34], null, s8, v36, 0
	v_mov_b32_e32 v0, v31
	v_lshlrev_b64_e32 v[2:3], 4, v[2:3]
	v_lshlrev_b64_e32 v[4:5], 4, v[4:5]
	v_mov_b32_e32 v7, v32
	s_delay_alu instid0(VALU_DEP_4) | instskip(SKIP_1) | instid1(VALU_DEP_4)
	v_mad_co_u64_u32 v[0:1], null, s9, v35, v[0:1]
	v_mov_b32_e32 v1, v34
	v_add_co_u32 v4, vcc_lo, v76, v4
	s_wait_alu 0xfffd
	v_add_co_ci_u32_e32 v5, vcc_lo, v77, v5, vcc_lo
	s_delay_alu instid0(VALU_DEP_3)
	v_mad_co_u64_u32 v[24:25], null, s9, v36, v[1:2]
	v_mov_b32_e32 v31, v0
	v_lshlrev_b64_e32 v[6:7], 4, v[6:7]
	v_add_co_u32 v0, vcc_lo, v76, v2
	s_wait_alu 0xfffd
	v_add_co_ci_u32_e32 v1, vcc_lo, v77, v3, vcc_lo
	v_mov_b32_e32 v34, v24
	v_lshlrev_b64_e32 v[2:3], 4, v[30:31]
	v_add_co_u32 v6, vcc_lo, v76, v6
	s_wait_alu 0xfffd
	v_add_co_ci_u32_e32 v7, vcc_lo, v77, v7, vcc_lo
	v_lshlrev_b64_e32 v[24:25], 4, v[33:34]
	s_delay_alu instid0(VALU_DEP_4) | instskip(SKIP_2) | instid1(VALU_DEP_3)
	v_add_co_u32 v2, vcc_lo, v76, v2
	s_wait_alu 0xfffd
	v_add_co_ci_u32_e32 v3, vcc_lo, v77, v3, vcc_lo
	v_add_co_u32 v24, vcc_lo, v76, v24
	s_wait_alu 0xfffd
	v_add_co_ci_u32_e32 v25, vcc_lo, v77, v25, vcc_lo
	s_wait_loadcnt 0x0
	s_clause 0x4
	global_store_b128 v[4:5], v[26:29], off
	global_store_b128 v[0:1], v[20:23], off
	;; [unrolled: 1-line block ×5, first 2 shown]
.LBB0_22:
	s_endpgm
	.section	.rodata,"a",@progbits
	.p2align	6, 0x0
	.amdhsa_kernel fft_rtc_back_len595_factors_7_17_5_wgs_51_tpt_17_halfLds_dp_ip_CI_sbrr_dirReg
		.amdhsa_group_segment_fixed_size 0
		.amdhsa_private_segment_fixed_size 640
		.amdhsa_kernarg_size 88
		.amdhsa_user_sgpr_count 2
		.amdhsa_user_sgpr_dispatch_ptr 0
		.amdhsa_user_sgpr_queue_ptr 0
		.amdhsa_user_sgpr_kernarg_segment_ptr 1
		.amdhsa_user_sgpr_dispatch_id 0
		.amdhsa_user_sgpr_private_segment_size 0
		.amdhsa_wavefront_size32 1
		.amdhsa_uses_dynamic_stack 0
		.amdhsa_enable_private_segment 1
		.amdhsa_system_sgpr_workgroup_id_x 1
		.amdhsa_system_sgpr_workgroup_id_y 0
		.amdhsa_system_sgpr_workgroup_id_z 0
		.amdhsa_system_sgpr_workgroup_info 0
		.amdhsa_system_vgpr_workitem_id 0
		.amdhsa_next_free_vgpr 256
		.amdhsa_next_free_sgpr 58
		.amdhsa_reserve_vcc 1
		.amdhsa_float_round_mode_32 0
		.amdhsa_float_round_mode_16_64 0
		.amdhsa_float_denorm_mode_32 3
		.amdhsa_float_denorm_mode_16_64 3
		.amdhsa_fp16_overflow 0
		.amdhsa_workgroup_processor_mode 1
		.amdhsa_memory_ordered 1
		.amdhsa_forward_progress 0
		.amdhsa_round_robin_scheduling 0
		.amdhsa_exception_fp_ieee_invalid_op 0
		.amdhsa_exception_fp_denorm_src 0
		.amdhsa_exception_fp_ieee_div_zero 0
		.amdhsa_exception_fp_ieee_overflow 0
		.amdhsa_exception_fp_ieee_underflow 0
		.amdhsa_exception_fp_ieee_inexact 0
		.amdhsa_exception_int_div_zero 0
	.end_amdhsa_kernel
	.text
.Lfunc_end0:
	.size	fft_rtc_back_len595_factors_7_17_5_wgs_51_tpt_17_halfLds_dp_ip_CI_sbrr_dirReg, .Lfunc_end0-fft_rtc_back_len595_factors_7_17_5_wgs_51_tpt_17_halfLds_dp_ip_CI_sbrr_dirReg
                                        ; -- End function
	.section	.AMDGPU.csdata,"",@progbits
; Kernel info:
; codeLenInByte = 35592
; NumSgprs: 60
; NumVgprs: 256
; ScratchSize: 640
; MemoryBound: 1
; FloatMode: 240
; IeeeMode: 1
; LDSByteSize: 0 bytes/workgroup (compile time only)
; SGPRBlocks: 7
; VGPRBlocks: 31
; NumSGPRsForWavesPerEU: 60
; NumVGPRsForWavesPerEU: 256
; Occupancy: 5
; WaveLimiterHint : 1
; COMPUTE_PGM_RSRC2:SCRATCH_EN: 1
; COMPUTE_PGM_RSRC2:USER_SGPR: 2
; COMPUTE_PGM_RSRC2:TRAP_HANDLER: 0
; COMPUTE_PGM_RSRC2:TGID_X_EN: 1
; COMPUTE_PGM_RSRC2:TGID_Y_EN: 0
; COMPUTE_PGM_RSRC2:TGID_Z_EN: 0
; COMPUTE_PGM_RSRC2:TIDIG_COMP_CNT: 0
	.text
	.p2alignl 7, 3214868480
	.fill 96, 4, 3214868480
	.type	__hip_cuid_69670dcffbd1b257,@object ; @__hip_cuid_69670dcffbd1b257
	.section	.bss,"aw",@nobits
	.globl	__hip_cuid_69670dcffbd1b257
__hip_cuid_69670dcffbd1b257:
	.byte	0                               ; 0x0
	.size	__hip_cuid_69670dcffbd1b257, 1

	.ident	"AMD clang version 19.0.0git (https://github.com/RadeonOpenCompute/llvm-project roc-6.4.0 25133 c7fe45cf4b819c5991fe208aaa96edf142730f1d)"
	.section	".note.GNU-stack","",@progbits
	.addrsig
	.addrsig_sym __hip_cuid_69670dcffbd1b257
	.amdgpu_metadata
---
amdhsa.kernels:
  - .args:
      - .actual_access:  read_only
        .address_space:  global
        .offset:         0
        .size:           8
        .value_kind:     global_buffer
      - .offset:         8
        .size:           8
        .value_kind:     by_value
      - .actual_access:  read_only
        .address_space:  global
        .offset:         16
        .size:           8
        .value_kind:     global_buffer
      - .actual_access:  read_only
        .address_space:  global
        .offset:         24
        .size:           8
        .value_kind:     global_buffer
      - .offset:         32
        .size:           8
        .value_kind:     by_value
      - .actual_access:  read_only
        .address_space:  global
        .offset:         40
        .size:           8
        .value_kind:     global_buffer
      - .actual_access:  read_only
        .address_space:  global
        .offset:         48
        .size:           8
        .value_kind:     global_buffer
      - .offset:         56
        .size:           4
        .value_kind:     by_value
      - .actual_access:  read_only
        .address_space:  global
        .offset:         64
        .size:           8
        .value_kind:     global_buffer
      - .actual_access:  read_only
        .address_space:  global
        .offset:         72
        .size:           8
        .value_kind:     global_buffer
      - .address_space:  global
        .offset:         80
        .size:           8
        .value_kind:     global_buffer
    .group_segment_fixed_size: 0
    .kernarg_segment_align: 8
    .kernarg_segment_size: 88
    .language:       OpenCL C
    .language_version:
      - 2
      - 0
    .max_flat_workgroup_size: 51
    .name:           fft_rtc_back_len595_factors_7_17_5_wgs_51_tpt_17_halfLds_dp_ip_CI_sbrr_dirReg
    .private_segment_fixed_size: 640
    .sgpr_count:     60
    .sgpr_spill_count: 0
    .symbol:         fft_rtc_back_len595_factors_7_17_5_wgs_51_tpt_17_halfLds_dp_ip_CI_sbrr_dirReg.kd
    .uniform_work_group_size: 1
    .uses_dynamic_stack: false
    .vgpr_count:     256
    .vgpr_spill_count: 164
    .wavefront_size: 32
    .workgroup_processor_mode: 1
amdhsa.target:   amdgcn-amd-amdhsa--gfx1201
amdhsa.version:
  - 1
  - 2
...

	.end_amdgpu_metadata
